;; amdgpu-corpus repo=ROCm/rocFFT kind=compiled arch=gfx906 opt=O3
	.text
	.amdgcn_target "amdgcn-amd-amdhsa--gfx906"
	.amdhsa_code_object_version 6
	.protected	fft_rtc_back_len3456_factors_6_6_6_4_4_wgs_144_tpt_144_halfLds_dp_ip_CI_unitstride_sbrr_R2C_dirReg ; -- Begin function fft_rtc_back_len3456_factors_6_6_6_4_4_wgs_144_tpt_144_halfLds_dp_ip_CI_unitstride_sbrr_R2C_dirReg
	.globl	fft_rtc_back_len3456_factors_6_6_6_4_4_wgs_144_tpt_144_halfLds_dp_ip_CI_unitstride_sbrr_R2C_dirReg
	.p2align	8
	.type	fft_rtc_back_len3456_factors_6_6_6_4_4_wgs_144_tpt_144_halfLds_dp_ip_CI_unitstride_sbrr_R2C_dirReg,@function
fft_rtc_back_len3456_factors_6_6_6_4_4_wgs_144_tpt_144_halfLds_dp_ip_CI_unitstride_sbrr_R2C_dirReg: ; @fft_rtc_back_len3456_factors_6_6_6_4_4_wgs_144_tpt_144_halfLds_dp_ip_CI_unitstride_sbrr_R2C_dirReg
; %bb.0:
	s_load_dwordx2 s[2:3], s[4:5], 0x50
	s_load_dwordx4 s[8:11], s[4:5], 0x0
	s_load_dwordx2 s[12:13], s[4:5], 0x18
	v_mul_u32_u24_e32 v1, 0x1c8, v0
	v_add_u32_sdwa v5, s6, v1 dst_sel:DWORD dst_unused:UNUSED_PAD src0_sel:DWORD src1_sel:WORD_1
	v_mov_b32_e32 v3, 0
	s_waitcnt lgkmcnt(0)
	v_cmp_lt_u64_e64 s[0:1], s[10:11], 2
	v_mov_b32_e32 v1, 0
	v_mov_b32_e32 v6, v3
	s_and_b64 vcc, exec, s[0:1]
	v_mov_b32_e32 v2, 0
	s_cbranch_vccnz .LBB0_8
; %bb.1:
	s_load_dwordx2 s[0:1], s[4:5], 0x10
	s_add_u32 s6, s12, 8
	s_addc_u32 s7, s13, 0
	v_mov_b32_e32 v1, 0
	v_mov_b32_e32 v2, 0
	s_waitcnt lgkmcnt(0)
	s_add_u32 s14, s0, 8
	s_addc_u32 s15, s1, 0
	s_mov_b64 s[16:17], 1
.LBB0_2:                                ; =>This Inner Loop Header: Depth=1
	s_load_dwordx2 s[18:19], s[14:15], 0x0
                                        ; implicit-def: $vgpr7_vgpr8
	s_waitcnt lgkmcnt(0)
	v_or_b32_e32 v4, s19, v6
	v_cmp_ne_u64_e32 vcc, 0, v[3:4]
	s_and_saveexec_b64 s[0:1], vcc
	s_xor_b64 s[20:21], exec, s[0:1]
	s_cbranch_execz .LBB0_4
; %bb.3:                                ;   in Loop: Header=BB0_2 Depth=1
	v_cvt_f32_u32_e32 v4, s18
	v_cvt_f32_u32_e32 v7, s19
	s_sub_u32 s0, 0, s18
	s_subb_u32 s1, 0, s19
	v_mac_f32_e32 v4, 0x4f800000, v7
	v_rcp_f32_e32 v4, v4
	v_mul_f32_e32 v4, 0x5f7ffffc, v4
	v_mul_f32_e32 v7, 0x2f800000, v4
	v_trunc_f32_e32 v7, v7
	v_mac_f32_e32 v4, 0xcf800000, v7
	v_cvt_u32_f32_e32 v7, v7
	v_cvt_u32_f32_e32 v4, v4
	v_mul_lo_u32 v8, s0, v7
	v_mul_hi_u32 v9, s0, v4
	v_mul_lo_u32 v11, s1, v4
	v_mul_lo_u32 v10, s0, v4
	v_add_u32_e32 v8, v9, v8
	v_add_u32_e32 v8, v8, v11
	v_mul_hi_u32 v9, v4, v10
	v_mul_lo_u32 v11, v4, v8
	v_mul_hi_u32 v13, v4, v8
	v_mul_hi_u32 v12, v7, v10
	v_mul_lo_u32 v10, v7, v10
	v_mul_hi_u32 v14, v7, v8
	v_add_co_u32_e32 v9, vcc, v9, v11
	v_addc_co_u32_e32 v11, vcc, 0, v13, vcc
	v_mul_lo_u32 v8, v7, v8
	v_add_co_u32_e32 v9, vcc, v9, v10
	v_addc_co_u32_e32 v9, vcc, v11, v12, vcc
	v_addc_co_u32_e32 v10, vcc, 0, v14, vcc
	v_add_co_u32_e32 v8, vcc, v9, v8
	v_addc_co_u32_e32 v9, vcc, 0, v10, vcc
	v_add_co_u32_e32 v4, vcc, v4, v8
	v_addc_co_u32_e32 v7, vcc, v7, v9, vcc
	v_mul_lo_u32 v8, s0, v7
	v_mul_hi_u32 v9, s0, v4
	v_mul_lo_u32 v10, s1, v4
	v_mul_lo_u32 v11, s0, v4
	v_add_u32_e32 v8, v9, v8
	v_add_u32_e32 v8, v8, v10
	v_mul_lo_u32 v12, v4, v8
	v_mul_hi_u32 v13, v4, v11
	v_mul_hi_u32 v14, v4, v8
	;; [unrolled: 1-line block ×3, first 2 shown]
	v_mul_lo_u32 v11, v7, v11
	v_mul_hi_u32 v9, v7, v8
	v_add_co_u32_e32 v12, vcc, v13, v12
	v_addc_co_u32_e32 v13, vcc, 0, v14, vcc
	v_mul_lo_u32 v8, v7, v8
	v_add_co_u32_e32 v11, vcc, v12, v11
	v_addc_co_u32_e32 v10, vcc, v13, v10, vcc
	v_addc_co_u32_e32 v9, vcc, 0, v9, vcc
	v_add_co_u32_e32 v8, vcc, v10, v8
	v_addc_co_u32_e32 v9, vcc, 0, v9, vcc
	v_add_co_u32_e32 v4, vcc, v4, v8
	v_addc_co_u32_e32 v9, vcc, v7, v9, vcc
	v_mad_u64_u32 v[7:8], s[0:1], v5, v9, 0
	v_mul_hi_u32 v10, v5, v4
	v_add_co_u32_e32 v11, vcc, v10, v7
	v_addc_co_u32_e32 v12, vcc, 0, v8, vcc
	v_mad_u64_u32 v[7:8], s[0:1], v6, v4, 0
	v_mad_u64_u32 v[9:10], s[0:1], v6, v9, 0
	v_add_co_u32_e32 v4, vcc, v11, v7
	v_addc_co_u32_e32 v4, vcc, v12, v8, vcc
	v_addc_co_u32_e32 v7, vcc, 0, v10, vcc
	v_add_co_u32_e32 v4, vcc, v4, v9
	v_addc_co_u32_e32 v9, vcc, 0, v7, vcc
	v_mul_lo_u32 v10, s19, v4
	v_mul_lo_u32 v11, s18, v9
	v_mad_u64_u32 v[7:8], s[0:1], s18, v4, 0
	v_add3_u32 v8, v8, v11, v10
	v_sub_u32_e32 v10, v6, v8
	v_mov_b32_e32 v11, s19
	v_sub_co_u32_e32 v7, vcc, v5, v7
	v_subb_co_u32_e64 v10, s[0:1], v10, v11, vcc
	v_subrev_co_u32_e64 v11, s[0:1], s18, v7
	v_subbrev_co_u32_e64 v10, s[0:1], 0, v10, s[0:1]
	v_cmp_le_u32_e64 s[0:1], s19, v10
	v_cndmask_b32_e64 v12, 0, -1, s[0:1]
	v_cmp_le_u32_e64 s[0:1], s18, v11
	v_cndmask_b32_e64 v11, 0, -1, s[0:1]
	v_cmp_eq_u32_e64 s[0:1], s19, v10
	v_cndmask_b32_e64 v10, v12, v11, s[0:1]
	v_add_co_u32_e64 v11, s[0:1], 2, v4
	v_addc_co_u32_e64 v12, s[0:1], 0, v9, s[0:1]
	v_add_co_u32_e64 v13, s[0:1], 1, v4
	v_addc_co_u32_e64 v14, s[0:1], 0, v9, s[0:1]
	v_subb_co_u32_e32 v8, vcc, v6, v8, vcc
	v_cmp_ne_u32_e64 s[0:1], 0, v10
	v_cmp_le_u32_e32 vcc, s19, v8
	v_cndmask_b32_e64 v10, v14, v12, s[0:1]
	v_cndmask_b32_e64 v12, 0, -1, vcc
	v_cmp_le_u32_e32 vcc, s18, v7
	v_cndmask_b32_e64 v7, 0, -1, vcc
	v_cmp_eq_u32_e32 vcc, s19, v8
	v_cndmask_b32_e32 v7, v12, v7, vcc
	v_cmp_ne_u32_e32 vcc, 0, v7
	v_cndmask_b32_e64 v7, v13, v11, s[0:1]
	v_cndmask_b32_e32 v8, v9, v10, vcc
	v_cndmask_b32_e32 v7, v4, v7, vcc
.LBB0_4:                                ;   in Loop: Header=BB0_2 Depth=1
	s_andn2_saveexec_b64 s[0:1], s[20:21]
	s_cbranch_execz .LBB0_6
; %bb.5:                                ;   in Loop: Header=BB0_2 Depth=1
	v_cvt_f32_u32_e32 v4, s18
	s_sub_i32 s20, 0, s18
	v_rcp_iflag_f32_e32 v4, v4
	v_mul_f32_e32 v4, 0x4f7ffffe, v4
	v_cvt_u32_f32_e32 v4, v4
	v_mul_lo_u32 v7, s20, v4
	v_mul_hi_u32 v7, v4, v7
	v_add_u32_e32 v4, v4, v7
	v_mul_hi_u32 v4, v5, v4
	v_mul_lo_u32 v7, v4, s18
	v_add_u32_e32 v8, 1, v4
	v_sub_u32_e32 v7, v5, v7
	v_subrev_u32_e32 v9, s18, v7
	v_cmp_le_u32_e32 vcc, s18, v7
	v_cndmask_b32_e32 v7, v7, v9, vcc
	v_cndmask_b32_e32 v4, v4, v8, vcc
	v_add_u32_e32 v8, 1, v4
	v_cmp_le_u32_e32 vcc, s18, v7
	v_cndmask_b32_e32 v7, v4, v8, vcc
	v_mov_b32_e32 v8, v3
.LBB0_6:                                ;   in Loop: Header=BB0_2 Depth=1
	s_or_b64 exec, exec, s[0:1]
	v_mul_lo_u32 v4, v8, s18
	v_mul_lo_u32 v11, v7, s19
	v_mad_u64_u32 v[9:10], s[0:1], v7, s18, 0
	s_load_dwordx2 s[0:1], s[6:7], 0x0
	s_add_u32 s16, s16, 1
	v_add3_u32 v4, v10, v11, v4
	v_sub_co_u32_e32 v5, vcc, v5, v9
	v_subb_co_u32_e32 v4, vcc, v6, v4, vcc
	s_waitcnt lgkmcnt(0)
	v_mul_lo_u32 v4, s0, v4
	v_mul_lo_u32 v6, s1, v5
	v_mad_u64_u32 v[1:2], s[0:1], s0, v5, v[1:2]
	s_addc_u32 s17, s17, 0
	s_add_u32 s6, s6, 8
	v_add3_u32 v2, v6, v2, v4
	v_mov_b32_e32 v4, s10
	v_mov_b32_e32 v5, s11
	s_addc_u32 s7, s7, 0
	v_cmp_ge_u64_e32 vcc, s[16:17], v[4:5]
	s_add_u32 s14, s14, 8
	s_addc_u32 s15, s15, 0
	s_cbranch_vccnz .LBB0_9
; %bb.7:                                ;   in Loop: Header=BB0_2 Depth=1
	v_mov_b32_e32 v5, v7
	v_mov_b32_e32 v6, v8
	s_branch .LBB0_2
.LBB0_8:
	v_mov_b32_e32 v8, v6
	v_mov_b32_e32 v7, v5
.LBB0_9:
	s_lshl_b64 s[0:1], s[10:11], 3
	s_add_u32 s0, s12, s0
	s_addc_u32 s1, s13, s1
	s_load_dwordx2 s[6:7], s[0:1], 0x0
	s_load_dwordx2 s[10:11], s[4:5], 0x20
                                        ; implicit-def: $vgpr46
                                        ; implicit-def: $vgpr53
                                        ; implicit-def: $vgpr52
                                        ; implicit-def: $vgpr51
                                        ; implicit-def: $vgpr50
	s_waitcnt lgkmcnt(0)
	v_mad_u64_u32 v[1:2], s[0:1], s6, v7, v[1:2]
	s_mov_b32 s0, 0x1c71c72
	v_mul_lo_u32 v3, s6, v8
	v_mul_lo_u32 v4, s7, v7
	v_mul_hi_u32 v5, v0, s0
	v_cmp_gt_u64_e64 s[0:1], s[10:11], v[7:8]
	v_cmp_le_u64_e32 vcc, s[10:11], v[7:8]
	v_add3_u32 v2, v4, v2, v3
	v_mul_u32_u24_e32 v3, 0x90, v5
	v_sub_u32_e32 v44, v0, v3
	s_and_saveexec_b64 s[4:5], vcc
	s_xor_b64 s[4:5], exec, s[4:5]
; %bb.10:
	v_add_u32_e32 v46, 0x90, v44
	v_add_u32_e32 v53, 0x120, v44
	;; [unrolled: 1-line block ×5, first 2 shown]
; %bb.11:
	s_or_saveexec_b64 s[4:5], s[4:5]
	v_lshlrev_b64 v[48:49], 4, v[1:2]
	s_xor_b64 exec, exec, s[4:5]
	s_cbranch_execz .LBB0_13
; %bb.12:
	v_mov_b32_e32 v45, 0
	v_mov_b32_e32 v0, s3
	v_add_co_u32_e32 v74, vcc, s2, v48
	v_addc_co_u32_e32 v75, vcc, v0, v49, vcc
	v_lshlrev_b64 v[0:1], 4, v[44:45]
	s_movk_i32 s6, 0x1000
	v_add_co_u32_e32 v46, vcc, v74, v0
	v_addc_co_u32_e32 v47, vcc, v75, v1, vcc
	v_add_co_u32_e32 v16, vcc, s6, v46
	v_addc_co_u32_e32 v17, vcc, 0, v47, vcc
	s_movk_i32 s6, 0x2000
	v_add_co_u32_e32 v24, vcc, s6, v46
	v_addc_co_u32_e32 v25, vcc, 0, v47, vcc
	s_movk_i32 s6, 0x3000
	;; [unrolled: 3-line block ×3, first 2 shown]
	v_add_co_u32_e32 v40, vcc, s6, v46
	s_movk_i32 s7, 0x5000
	v_addc_co_u32_e32 v41, vcc, 0, v47, vcc
	v_add_co_u32_e32 v54, vcc, s7, v46
	v_addc_co_u32_e32 v55, vcc, 0, v47, vcc
	s_movk_i32 s6, 0x6000
	v_add_co_u32_e32 v62, vcc, s6, v46
	v_addc_co_u32_e32 v63, vcc, 0, v47, vcc
	s_movk_i32 s6, 0x7000
	v_add_co_u32_e32 v70, vcc, s6, v46
	v_addc_co_u32_e32 v71, vcc, 0, v47, vcc
	s_mov_b32 s6, 0x8000
	v_add_co_u32_e32 v72, vcc, s6, v46
	global_load_dwordx4 v[0:3], v[46:47], off
	global_load_dwordx4 v[4:7], v[46:47], off offset:2304
	global_load_dwordx4 v[8:11], v[16:17], off offset:512
	;; [unrolled: 1-line block ×3, first 2 shown]
	s_nop 0
	global_load_dwordx4 v[16:19], v[24:25], off offset:1024
	global_load_dwordx4 v[20:23], v[24:25], off offset:3328
	s_nop 0
	global_load_dwordx4 v[24:27], v[32:33], off offset:1536
	global_load_dwordx4 v[28:31], v[32:33], off offset:3840
	;; [unrolled: 3-line block ×5, first 2 shown]
	v_addc_co_u32_e32 v73, vcc, 0, v47, vcc
	global_load_dwordx4 v[62:65], v[70:71], off offset:3584
	global_load_dwordx4 v[66:69], v[72:73], off offset:1792
	v_or_b32_e32 v70, 0x900, v44
	v_mov_b32_e32 v71, v45
	v_lshlrev_b64 v[70:71], 4, v[70:71]
	s_mov_b32 s6, 0x9000
	v_add_co_u32_e32 v78, vcc, v74, v70
	v_addc_co_u32_e32 v79, vcc, v75, v71, vcc
	v_add_co_u32_e32 v80, vcc, s6, v46
	v_addc_co_u32_e32 v81, vcc, 0, v47, vcc
	s_mov_b32 s6, 0xa000
	v_add_co_u32_e32 v86, vcc, s6, v46
	v_addc_co_u32_e32 v87, vcc, 0, v47, vcc
	v_add_co_u32_e32 v94, vcc, 0xb000, v46
	v_addc_co_u32_e32 v95, vcc, 0, v47, vcc
	v_add_co_u32_e32 v45, vcc, 0xc000, v46
	global_load_dwordx4 v[70:73], v[78:79], off
	global_load_dwordx4 v[74:77], v[80:81], off offset:2304
	s_nop 0
	global_load_dwordx4 v[78:81], v[86:87], off offset:512
	global_load_dwordx4 v[82:85], v[86:87], off offset:2816
	v_addc_co_u32_e32 v46, vcc, 0, v47, vcc
	global_load_dwordx4 v[86:89], v[94:95], off offset:1024
	global_load_dwordx4 v[90:93], v[94:95], off offset:3328
	s_nop 0
	global_load_dwordx4 v[94:97], v[45:46], off offset:1536
	global_load_dwordx4 v[98:101], v[45:46], off offset:3840
	v_lshl_add_u32 v45, v44, 4, 0
	v_add_u32_e32 v46, 0x90, v44
	s_waitcnt vmcnt(23)
	ds_write_b128 v45, v[0:3]
	s_waitcnt vmcnt(22)
	ds_write_b128 v45, v[4:7] offset:2304
	s_waitcnt vmcnt(21)
	ds_write_b128 v45, v[8:11] offset:4608
	s_waitcnt vmcnt(20)
	ds_write_b128 v45, v[12:15] offset:6912
	s_waitcnt vmcnt(19)
	ds_write_b128 v45, v[16:19] offset:9216
	s_waitcnt vmcnt(18)
	ds_write_b128 v45, v[20:23] offset:11520
	s_waitcnt vmcnt(17)
	ds_write_b128 v45, v[24:27] offset:13824
	s_waitcnt vmcnt(16)
	ds_write_b128 v45, v[28:31] offset:16128
	s_waitcnt vmcnt(15)
	ds_write_b128 v45, v[32:35] offset:18432
	s_waitcnt vmcnt(14)
	ds_write_b128 v45, v[36:39] offset:20736
	s_waitcnt vmcnt(13)
	ds_write_b128 v45, v[40:43] offset:23040
	s_waitcnt vmcnt(12)
	ds_write_b128 v45, v[50:53] offset:25344
	s_waitcnt vmcnt(11)
	ds_write_b128 v45, v[54:57] offset:27648
	s_waitcnt vmcnt(10)
	ds_write_b128 v45, v[58:61] offset:29952
	s_waitcnt vmcnt(9)
	ds_write_b128 v45, v[62:65] offset:32256
	s_waitcnt vmcnt(8)
	ds_write_b128 v45, v[66:69] offset:34560
	s_waitcnt vmcnt(7)
	ds_write_b128 v45, v[70:73] offset:36864
	s_waitcnt vmcnt(6)
	ds_write_b128 v45, v[74:77] offset:39168
	s_waitcnt vmcnt(5)
	ds_write_b128 v45, v[78:81] offset:41472
	s_waitcnt vmcnt(4)
	ds_write_b128 v45, v[82:85] offset:43776
	s_waitcnt vmcnt(3)
	ds_write_b128 v45, v[86:89] offset:46080
	v_add_u32_e32 v53, 0x120, v44
	v_add_u32_e32 v52, 0x1b0, v44
	;; [unrolled: 1-line block ×4, first 2 shown]
	s_waitcnt vmcnt(2)
	ds_write_b128 v45, v[90:93] offset:48384
	s_waitcnt vmcnt(1)
	ds_write_b128 v45, v[94:97] offset:50688
	;; [unrolled: 2-line block ×3, first 2 shown]
.LBB0_13:
	s_or_b64 exec, exec, s[4:5]
	v_lshlrev_b32_e32 v45, 4, v44
	v_add_u32_e32 v55, 0, v45
	s_waitcnt lgkmcnt(0)
	s_barrier
	ds_read_b128 v[24:27], v55
	ds_read_b128 v[12:15], v55 offset:18432
	ds_read_b128 v[0:3], v55 offset:16128
	;; [unrolled: 1-line block ×10, first 2 shown]
	s_waitcnt lgkmcnt(9)
	v_add_f64 v[56:57], v[24:25], v[12:13]
	s_waitcnt lgkmcnt(4)
	v_add_f64 v[62:63], v[34:35], v[38:39]
	v_add_f64 v[58:59], v[26:27], v[14:15]
	;; [unrolled: 1-line block ×3, first 2 shown]
	v_add_f64 v[64:65], v[14:15], -v[30:31]
	v_add_f64 v[66:67], v[14:15], v[30:31]
	v_add_f64 v[68:69], v[12:13], -v[28:29]
	ds_read_b128 v[12:15], v55 offset:6912
	s_waitcnt lgkmcnt(1)
	v_add_f64 v[70:71], v[40:41], v[32:33]
	v_add_f64 v[72:73], v[32:33], -v[36:37]
	v_fma_f64 v[62:63], v[62:63], -0.5, v[42:43]
	v_add_f64 v[32:33], v[32:33], v[36:37]
	v_add_f64 v[42:43], v[42:43], v[34:35]
	s_mov_b32 s6, 0xe8584caa
	s_mov_b32 s7, 0xbfebb67a
	;; [unrolled: 1-line block ×4, first 2 shown]
	v_add_f64 v[34:35], v[34:35], -v[38:39]
	v_fma_f64 v[74:75], v[72:73], s[4:5], v[62:63]
	v_fma_f64 v[32:33], v[32:33], -0.5, v[40:41]
	v_add_f64 v[38:39], v[42:43], v[38:39]
	v_fma_f64 v[42:43], v[72:73], s[6:7], v[62:63]
	v_add_f64 v[28:29], v[56:57], v[28:29]
	v_add_f64 v[30:31], v[58:59], v[30:31]
	v_fma_f64 v[40:41], v[60:61], -0.5, v[24:25]
	v_fma_f64 v[62:63], v[66:67], -0.5, v[26:27]
	v_mul_f64 v[56:57], v[74:75], s[6:7]
	v_fma_f64 v[58:59], v[34:35], s[6:7], v[32:33]
	v_mul_f64 v[60:61], v[74:75], 0.5
	v_fma_f64 v[32:33], v[34:35], s[4:5], v[32:33]
	v_mul_f64 v[34:35], v[42:43], s[6:7]
	v_mul_f64 v[42:43], v[42:43], -0.5
	v_add_f64 v[36:37], v[70:71], v[36:37]
	v_fma_f64 v[66:67], v[68:69], s[4:5], v[62:63]
	v_fma_f64 v[62:63], v[68:69], s[6:7], v[62:63]
	v_fma_f64 v[56:57], v[58:59], 0.5, v[56:57]
	v_fma_f64 v[58:59], v[58:59], s[4:5], v[60:61]
	v_fma_f64 v[60:61], v[64:65], s[6:7], v[40:41]
	;; [unrolled: 1-line block ×3, first 2 shown]
	v_fma_f64 v[68:69], v[32:33], -0.5, v[34:35]
	v_fma_f64 v[70:71], v[32:33], s[4:5], v[42:43]
	v_add_f64 v[24:25], v[28:29], v[36:37]
	v_add_f64 v[26:27], v[30:31], v[38:39]
	v_add_f64 v[28:29], v[28:29], -v[36:37]
	v_add_f64 v[30:31], v[30:31], -v[38:39]
	v_add_f64 v[32:33], v[60:61], v[56:57]
	v_add_f64 v[34:35], v[66:67], v[58:59]
	v_add_f64 v[36:37], v[60:61], -v[56:57]
	v_add_f64 v[38:39], v[66:67], -v[58:59]
	;; [unrolled: 4-line block ×3, first 2 shown]
	ds_read_b128 v[60:63], v55 offset:2304
	ds_read_b128 v[64:67], v55 offset:4608
	;; [unrolled: 1-line block ×12, first 2 shown]
	v_mul_u32_u24_e32 v47, 6, v44
	v_lshl_add_u32 v47, v47, 4, 0
	s_waitcnt lgkmcnt(0)
	v_add_f64 v[108:109], v[86:87], v[102:103]
	s_barrier
	ds_write_b128 v47, v[24:27]
	ds_write_b128 v47, v[32:35] offset:16
	ds_write_b128 v47, v[40:43] offset:32
	;; [unrolled: 1-line block ×5, first 2 shown]
	v_add_f64 v[24:25], v[84:85], -v[100:101]
	v_add_f64 v[28:29], v[84:85], v[100:101]
	v_add_f64 v[40:41], v[86:87], -v[102:103]
	v_add_f64 v[32:33], v[62:63], v[78:79]
	v_fma_f64 v[26:27], v[108:109], -0.5, v[70:71]
	v_add_f64 v[34:35], v[76:77], v[92:93]
	v_add_f64 v[36:37], v[68:69], v[84:85]
	;; [unrolled: 1-line block ×3, first 2 shown]
	v_add_f64 v[56:57], v[78:79], -v[94:95]
	v_fma_f64 v[28:29], v[28:29], -0.5, v[68:69]
	v_add_f64 v[58:59], v[78:79], v[94:95]
	v_add_f64 v[30:31], v[60:61], v[76:77]
	v_fma_f64 v[42:43], v[24:25], s[4:5], v[26:27]
	v_fma_f64 v[78:79], v[24:25], s[6:7], v[26:27]
	v_add_f64 v[76:77], v[76:77], -v[92:93]
	v_fma_f64 v[34:35], v[34:35], -0.5, v[60:61]
	v_add_f64 v[32:33], v[32:33], v[94:95]
	v_fma_f64 v[70:71], v[40:41], s[6:7], v[28:29]
	v_fma_f64 v[58:59], v[58:59], -0.5, v[62:63]
	v_fma_f64 v[40:41], v[40:41], s[4:5], v[28:29]
	v_mul_f64 v[68:69], v[42:43], s[6:7]
	v_mul_f64 v[42:43], v[42:43], 0.5
	v_mul_f64 v[62:63], v[78:79], s[6:7]
	v_add_f64 v[30:31], v[30:31], v[92:93]
	v_add_f64 v[36:37], v[36:37], v[100:101]
	;; [unrolled: 1-line block ×4, first 2 shown]
	v_add_f64 v[86:87], v[82:83], -v[98:99]
	v_fma_f64 v[60:61], v[70:71], 0.5, v[68:69]
	v_mul_f64 v[68:69], v[78:79], -0.5
	v_fma_f64 v[42:43], v[70:71], s[4:5], v[42:43]
	v_fma_f64 v[70:71], v[56:57], s[6:7], v[34:35]
	;; [unrolled: 1-line block ×4, first 2 shown]
	v_fma_f64 v[58:59], v[40:41], -0.5, v[62:63]
	v_add_f64 v[24:25], v[30:31], v[36:37]
	v_add_f64 v[26:27], v[32:33], v[38:39]
	v_fma_f64 v[62:63], v[40:41], s[4:5], v[68:69]
	v_add_f64 v[68:69], v[90:91], v[106:107]
	v_add_f64 v[28:29], v[30:31], -v[36:37]
	v_fma_f64 v[56:57], v[56:57], s[4:5], v[34:35]
	v_add_f64 v[30:31], v[32:33], -v[38:39]
	v_add_f64 v[32:33], v[70:71], v[60:61]
	v_add_f64 v[34:35], v[78:79], v[42:43]
	v_add_f64 v[36:37], v[70:71], -v[60:61]
	v_add_f64 v[38:39], v[78:79], -v[42:43]
	;; [unrolled: 1-line block ×3, first 2 shown]
	v_fma_f64 v[68:69], v[68:69], -0.5, v[74:75]
	v_add_f64 v[78:79], v[88:89], v[104:105]
	v_add_f64 v[88:89], v[72:73], v[88:89]
	;; [unrolled: 1-line block ×3, first 2 shown]
	v_add_f64 v[90:91], v[90:91], -v[106:107]
	v_add_f64 v[40:41], v[56:57], v[58:59]
	v_add_f64 v[42:43], v[76:77], v[62:63]
	v_add_f64 v[59:60], v[56:57], -v[58:59]
	v_fma_f64 v[92:93], v[70:71], s[4:5], v[68:69]
	v_fma_f64 v[72:73], v[78:79], -0.5, v[72:73]
	v_add_f64 v[61:62], v[76:77], -v[62:63]
	v_add_f64 v[56:57], v[64:65], v[80:81]
	v_add_f64 v[76:77], v[66:67], v[82:83]
	;; [unrolled: 1-line block ×3, first 2 shown]
	v_add_f64 v[78:79], v[80:81], -v[96:97]
	v_add_f64 v[80:81], v[88:89], v[104:105]
	v_mul_f64 v[88:89], v[92:93], s[6:7]
	v_fma_f64 v[68:69], v[70:71], s[6:7], v[68:69]
	v_fma_f64 v[70:71], v[90:91], s[6:7], v[72:73]
	v_fma_f64 v[84:85], v[84:85], -0.5, v[64:65]
	v_add_f64 v[56:57], v[56:57], v[96:97]
	v_add_f64 v[76:77], v[76:77], v[98:99]
	;; [unrolled: 1-line block ×3, first 2 shown]
	v_mul_f64 v[92:93], v[92:93], 0.5
	v_fma_f64 v[82:83], v[82:83], -0.5, v[66:67]
	v_fma_f64 v[72:73], v[90:91], s[4:5], v[72:73]
	v_mul_f64 v[90:91], v[68:69], s[6:7]
	v_fma_f64 v[88:89], v[70:71], 0.5, v[88:89]
	v_mul_f64 v[94:95], v[68:69], -0.5
	v_fma_f64 v[96:97], v[86:87], s[6:7], v[84:85]
	v_add_f64 v[63:64], v[56:57], v[80:81]
	v_add_f64 v[65:66], v[76:77], v[74:75]
	v_fma_f64 v[92:93], v[70:71], s[4:5], v[92:93]
	v_add_f64 v[67:68], v[56:57], -v[80:81]
	v_fma_f64 v[56:57], v[86:87], s[4:5], v[84:85]
	v_fma_f64 v[84:85], v[72:73], -0.5, v[90:91]
	v_fma_f64 v[86:87], v[78:79], s[6:7], v[82:83]
	v_fma_f64 v[90:91], v[72:73], s[4:5], v[94:95]
	v_add_f64 v[69:70], v[76:77], -v[74:75]
	v_add_f64 v[71:72], v[96:97], v[88:89]
	v_add_f64 v[75:76], v[96:97], -v[88:89]
	v_add_f64 v[88:89], v[10:11], v[6:7]
	v_fma_f64 v[98:99], v[78:79], s[4:5], v[82:83]
	v_add_f64 v[79:80], v[56:57], v[84:85]
	v_add_f64 v[83:84], v[56:57], -v[84:85]
	v_add_f64 v[81:82], v[86:87], v[90:91]
	v_add_f64 v[85:86], v[86:87], -v[90:91]
	v_add_f64 v[94:95], v[8:9], -v[4:5]
	v_add_f64 v[96:97], v[8:9], v[4:5]
	v_fma_f64 v[87:88], v[88:89], -0.5, v[2:3]
	v_add_f64 v[73:74], v[98:99], v[92:93]
	v_add_f64 v[77:78], v[98:99], -v[92:93]
	v_add_f64 v[92:93], v[20:21], v[16:17]
	v_add_f64 v[8:9], v[0:1], v[8:9]
	v_add_f64 v[56:57], v[12:13], v[20:21]
	v_add_f64 v[90:91], v[14:15], v[22:23]
	v_add_f64 v[98:99], v[22:23], -v[18:19]
	v_add_f64 v[22:23], v[22:23], v[18:19]
	v_add_f64 v[2:3], v[2:3], v[10:11]
	v_add_f64 v[10:11], v[10:11], -v[6:7]
	v_fma_f64 v[100:101], v[94:95], s[4:5], v[87:88]
	v_fma_f64 v[96:97], v[96:97], -0.5, v[0:1]
	v_add_f64 v[4:5], v[8:9], v[4:5]
	v_fma_f64 v[8:9], v[92:93], -0.5, v[12:13]
	v_fma_f64 v[12:13], v[94:95], s[6:7], v[87:88]
	v_add_f64 v[20:21], v[20:21], -v[16:17]
	v_add_f64 v[16:17], v[56:57], v[16:17]
	v_add_f64 v[18:19], v[90:91], v[18:19]
	v_mul_f64 v[56:57], v[100:101], s[6:7]
	v_fma_f64 v[87:88], v[10:11], s[6:7], v[96:97]
	v_mul_f64 v[89:90], v[100:101], 0.5
	v_fma_f64 v[14:15], v[22:23], -0.5, v[14:15]
	v_fma_f64 v[10:11], v[10:11], s[4:5], v[96:97]
	v_mul_f64 v[22:23], v[12:13], s[6:7]
	v_mul_f64 v[12:13], v[12:13], -0.5
	v_add_f64 v[6:7], v[2:3], v[6:7]
	v_fma_f64 v[93:94], v[98:99], s[4:5], v[8:9]
	v_fma_f64 v[56:57], v[87:88], 0.5, v[56:57]
	v_fma_f64 v[87:88], v[87:88], s[4:5], v[89:90]
	v_fma_f64 v[89:90], v[98:99], s[6:7], v[8:9]
	;; [unrolled: 1-line block ×4, first 2 shown]
	v_fma_f64 v[20:21], v[10:11], -0.5, v[22:23]
	v_fma_f64 v[22:23], v[10:11], s[4:5], v[12:13]
	v_add_f64 v[0:1], v[16:17], v[4:5]
	v_add_f64 v[2:3], v[18:19], v[6:7]
	v_add_f64 v[4:5], v[16:17], -v[4:5]
	v_add_f64 v[8:9], v[89:90], v[56:57]
	v_add_f64 v[10:11], v[91:92], v[87:88]
	v_add_f64 v[6:7], v[18:19], -v[6:7]
	v_add_f64 v[16:17], v[93:94], v[20:21]
	v_add_f64 v[18:19], v[95:96], v[22:23]
	v_mul_i32_i24_e32 v47, 6, v46
	v_add_f64 v[12:13], v[89:90], -v[56:57]
	v_add_f64 v[14:15], v[91:92], -v[87:88]
	v_lshl_add_u32 v58, v47, 4, 0
	v_add_f64 v[20:21], v[93:94], -v[20:21]
	v_add_f64 v[22:23], v[95:96], -v[22:23]
	ds_write_b128 v58, v[24:27]
	ds_write_b128 v58, v[32:35] offset:16
	ds_write_b128 v58, v[40:43] offset:32
	;; [unrolled: 1-line block ×5, first 2 shown]
	v_mul_i32_i24_e32 v24, 6, v53
	v_lshl_add_u32 v57, v24, 4, 0
	v_mul_i32_i24_e32 v24, 6, v52
	v_lshl_add_u32 v56, v24, 4, 0
	s_movk_i32 s10, 0xab
	ds_write_b128 v57, v[63:66]
	ds_write_b128 v57, v[71:74] offset:16
	ds_write_b128 v57, v[79:82] offset:32
	;; [unrolled: 1-line block ×5, first 2 shown]
	ds_write_b128 v56, v[0:3]
	ds_write_b128 v56, v[8:11] offset:16
	ds_write_b128 v56, v[16:19] offset:32
	;; [unrolled: 1-line block ×5, first 2 shown]
	v_mul_lo_u16_sdwa v0, v44, s10 dst_sel:DWORD dst_unused:UNUSED_PAD src0_sel:BYTE_0 src1_sel:DWORD
	v_lshrrev_b16_e32 v54, 10, v0
	v_mul_lo_u16_e32 v0, 6, v54
	v_sub_u16_e32 v60, v44, v0
	v_mov_b32_e32 v61, 5
	v_mul_u32_u24_sdwa v0, v60, v61 dst_sel:DWORD dst_unused:UNUSED_PAD src0_sel:BYTE_0 src1_sel:DWORD
	v_lshlrev_b32_e32 v16, 4, v0
	s_waitcnt lgkmcnt(0)
	s_barrier
	global_load_dwordx4 v[0:3], v16, s[8:9]
	global_load_dwordx4 v[12:15], v16, s[8:9] offset:16
	global_load_dwordx4 v[4:7], v16, s[8:9] offset:32
	;; [unrolled: 1-line block ×3, first 2 shown]
	s_mov_b32 s10, 0xaaab
	v_mul_u32_u24_sdwa v17, v46, s10 dst_sel:DWORD dst_unused:UNUSED_PAD src0_sel:WORD_0 src1_sel:DWORD
	v_lshrrev_b32_e32 v63, 18, v17
	global_load_dwordx4 v[16:19], v16, s[8:9] offset:64
	v_mul_lo_u16_e32 v20, 6, v63
	v_sub_u16_e32 v64, v46, v20
	v_mul_u32_u24_e32 v20, 5, v64
	v_lshlrev_b32_e32 v40, 4, v20
	global_load_dwordx4 v[20:23], v40, s[8:9]
	global_load_dwordx4 v[24:27], v40, s[8:9] offset:16
	global_load_dwordx4 v[28:31], v40, s[8:9] offset:32
	;; [unrolled: 1-line block ×4, first 2 shown]
	v_mul_u32_u24_sdwa v40, v53, s10 dst_sel:DWORD dst_unused:UNUSED_PAD src0_sel:WORD_0 src1_sel:DWORD
	v_lshrrev_b32_e32 v65, 18, v40
	v_mul_lo_u16_e32 v40, 6, v65
	v_sub_u16_e32 v66, v53, v40
	v_mul_u32_u24_e32 v40, 5, v66
	v_lshlrev_b32_e32 v62, 4, v40
	global_load_dwordx4 v[40:43], v62, s[8:9]
	v_lshl_add_u32 v59, v51, 4, 0
	ds_read_b128 v[67:70], v59
	s_movk_i32 s11, 0xffb0
	v_mad_i32_i24 v47, v46, s11, v58
	ds_read_b128 v[71:74], v47
	ds_read_b128 v[75:78], v55 offset:18432
	ds_read_b128 v[79:82], v55 offset:27648
	;; [unrolled: 1-line block ×4, first 2 shown]
	s_waitcnt vmcnt(10) lgkmcnt(5)
	v_mul_f64 v[91:92], v[69:70], v[2:3]
	v_mul_f64 v[2:3], v[67:68], v[2:3]
	s_waitcnt vmcnt(9) lgkmcnt(3)
	v_mul_f64 v[93:94], v[77:78], v[14:15]
	v_mul_f64 v[14:15], v[75:76], v[14:15]
	;; [unrolled: 3-line block ×3, first 2 shown]
	v_fma_f64 v[99:100], v[67:68], v[0:1], v[91:92]
	v_fma_f64 v[101:102], v[69:70], v[0:1], -v[2:3]
	ds_read_b128 v[67:70], v55 offset:36864
	global_load_dwordx4 v[0:3], v62, s[8:9] offset:16
	v_fma_f64 v[103:104], v[75:76], v[12:13], v[93:94]
	v_fma_f64 v[105:106], v[77:78], v[12:13], -v[14:15]
	ds_read_b128 v[12:15], v55 offset:34560
	ds_read_b128 v[75:78], v55 offset:46080
	s_waitcnt vmcnt(8) lgkmcnt(2)
	v_mul_f64 v[107:108], v[69:70], v[10:11]
	v_mul_f64 v[10:11], v[67:68], v[10:11]
	v_fma_f64 v[79:80], v[79:80], v[4:5], v[95:96]
	ds_read_b128 v[91:94], v55 offset:43776
	ds_read_b128 v[95:98], v55 offset:11520
	s_waitcnt vmcnt(7) lgkmcnt(2)
	v_mul_f64 v[109:110], v[77:78], v[18:19]
	v_mul_f64 v[18:19], v[75:76], v[18:19]
	v_fma_f64 v[81:82], v[81:82], v[4:5], -v[6:7]
	ds_read_b128 v[4:7], v55 offset:13824
	v_fma_f64 v[107:108], v[67:68], v[8:9], v[107:108]
	v_fma_f64 v[113:114], v[69:70], v[8:9], -v[10:11]
	ds_read_b128 v[8:11], v55 offset:20736
	s_waitcnt vmcnt(6) lgkmcnt(2)
	v_mul_f64 v[111:112], v[97:98], v[22:23]
	v_fma_f64 v[75:76], v[75:76], v[16:17], v[109:110]
	v_fma_f64 v[77:78], v[77:78], v[16:17], -v[18:19]
	ds_read_b128 v[16:19], v55 offset:23040
	ds_read_b128 v[67:70], v55 offset:29952
	s_waitcnt vmcnt(5) lgkmcnt(2)
	v_mul_f64 v[109:110], v[10:11], v[26:27]
	v_mul_f64 v[26:27], v[8:9], v[26:27]
	;; [unrolled: 1-line block ×3, first 2 shown]
	v_fma_f64 v[95:96], v[95:96], v[20:21], v[111:112]
	s_waitcnt vmcnt(4) lgkmcnt(0)
	v_mul_f64 v[111:112], v[69:70], v[30:31]
	v_mul_f64 v[30:31], v[67:68], v[30:31]
	v_fma_f64 v[109:110], v[8:9], v[24:25], v[109:110]
	v_fma_f64 v[115:116], v[10:11], v[24:25], -v[26:27]
	ds_read_b128 v[8:11], v55 offset:39168
	ds_read_b128 v[24:27], v55 offset:41472
	v_fma_f64 v[97:98], v[97:98], v[20:21], -v[22:23]
	v_fma_f64 v[67:68], v[67:68], v[28:29], v[111:112]
	v_fma_f64 v[69:70], v[69:70], v[28:29], -v[30:31]
	s_waitcnt vmcnt(3) lgkmcnt(1)
	v_mul_f64 v[111:112], v[10:11], v[34:35]
	v_mul_f64 v[34:35], v[8:9], v[34:35]
	ds_read_b128 v[28:31], v55 offset:48384
	ds_read_b128 v[20:23], v55 offset:32256
	v_fma_f64 v[111:112], v[8:9], v[32:33], v[111:112]
	v_fma_f64 v[32:33], v[10:11], v[32:33], -v[34:35]
	ds_read_b128 v[8:11], v55 offset:50688
	s_waitcnt vmcnt(2) lgkmcnt(2)
	v_mul_f64 v[34:35], v[30:31], v[38:39]
	v_mul_f64 v[38:39], v[28:29], v[38:39]
	v_fma_f64 v[34:35], v[28:29], v[36:37], v[34:35]
	v_fma_f64 v[36:37], v[30:31], v[36:37], -v[38:39]
	s_waitcnt vmcnt(1)
	v_mul_f64 v[38:39], v[6:7], v[42:43]
	global_load_dwordx4 v[28:31], v62, s[8:9] offset:32
	v_mul_f64 v[42:43], v[4:5], v[42:43]
	v_fma_f64 v[38:39], v[4:5], v[40:41], v[38:39]
	v_fma_f64 v[40:41], v[6:7], v[40:41], -v[42:43]
	global_load_dwordx4 v[4:7], v62, s[8:9] offset:48
	s_waitcnt vmcnt(2)
	v_mul_f64 v[42:43], v[18:19], v[2:3]
	v_mul_f64 v[2:3], v[16:17], v[2:3]
	v_fma_f64 v[42:43], v[16:17], v[0:1], v[42:43]
	v_fma_f64 v[117:118], v[18:19], v[0:1], -v[2:3]
	global_load_dwordx4 v[0:3], v62, s[8:9] offset:64
	v_mov_b32_e32 v62, 4
	s_waitcnt vmcnt(2) lgkmcnt(1)
	v_mul_f64 v[16:17], v[22:23], v[30:31]
	v_mul_f64 v[18:19], v[20:21], v[30:31]
	v_fma_f64 v[119:120], v[20:21], v[28:29], v[16:17]
	v_fma_f64 v[121:122], v[22:23], v[28:29], -v[18:19]
	s_waitcnt vmcnt(1)
	v_mul_f64 v[16:17], v[26:27], v[6:7]
	v_mul_f64 v[6:7], v[24:25], v[6:7]
	v_add_f64 v[20:21], v[81:82], -v[77:78]
	v_add_f64 v[28:29], v[103:104], -v[107:108]
	v_fma_f64 v[123:124], v[24:25], v[4:5], v[16:17]
	v_fma_f64 v[125:126], v[26:27], v[4:5], -v[6:7]
	v_mul_u32_u24_sdwa v4, v52, s10 dst_sel:DWORD dst_unused:UNUSED_PAD src0_sel:WORD_0 src1_sel:DWORD
	v_lshrrev_b32_e32 v139, 18, v4
	v_mul_lo_u16_e32 v4, 6, v139
	v_sub_u16_e32 v140, v52, v4
	v_mul_u32_u24_e32 v4, 5, v140
	v_lshlrev_b32_e32 v18, 4, v4
	global_load_dwordx4 v[4:7], v18, s[8:9]
	s_mov_b32 s10, 0xe38f
	s_waitcnt vmcnt(1) lgkmcnt(0)
	v_mul_f64 v[16:17], v[10:11], v[2:3]
	v_mul_f64 v[2:3], v[8:9], v[2:3]
	v_fma_f64 v[127:128], v[8:9], v[0:1], v[16:17]
	v_fma_f64 v[129:130], v[10:11], v[0:1], -v[2:3]
	global_load_dwordx4 v[0:3], v18, s[8:9] offset:16
	s_waitcnt vmcnt(1)
	v_mul_f64 v[8:9], v[85:86], v[6:7]
	v_mul_f64 v[6:7], v[83:84], v[6:7]
	v_fma_f64 v[83:84], v[83:84], v[4:5], v[8:9]
	v_fma_f64 v[85:86], v[85:86], v[4:5], -v[6:7]
	global_load_dwordx4 v[4:7], v18, s[8:9] offset:32
	s_waitcnt vmcnt(1)
	v_mul_f64 v[8:9], v[89:90], v[2:3]
	v_mul_f64 v[2:3], v[87:88], v[2:3]
	v_fma_f64 v[87:88], v[87:88], v[0:1], v[8:9]
	v_fma_f64 v[89:90], v[89:90], v[0:1], -v[2:3]
	global_load_dwordx4 v[0:3], v18, s[8:9] offset:48
	global_load_dwordx4 v[8:11], v18, s[8:9] offset:64
	s_waitcnt vmcnt(2)
	v_mul_f64 v[16:17], v[14:15], v[6:7]
	v_mul_f64 v[6:7], v[12:13], v[6:7]
	v_fma_f64 v[131:132], v[12:13], v[4:5], v[16:17]
	v_fma_f64 v[133:134], v[14:15], v[4:5], -v[6:7]
	v_add_f64 v[16:17], v[101:102], v[81:82]
	s_waitcnt vmcnt(1)
	v_mul_f64 v[6:7], v[93:94], v[2:3]
	v_mul_f64 v[12:13], v[91:92], v[2:3]
	ds_read_b128 v[2:5], v55 offset:52992
	v_add_f64 v[16:17], v[16:17], v[77:78]
	v_fma_f64 v[91:92], v[91:92], v[0:1], v[6:7]
	v_fma_f64 v[93:94], v[93:94], v[0:1], -v[12:13]
	ds_read_b128 v[12:15], v55
	s_waitcnt vmcnt(0) lgkmcnt(1)
	v_mul_f64 v[0:1], v[4:5], v[10:11]
	v_mul_f64 v[6:7], v[2:3], v[10:11]
	v_add_f64 v[10:11], v[79:80], v[75:76]
	v_fma_f64 v[135:136], v[2:3], v[8:9], v[0:1]
	v_add_f64 v[2:3], v[105:106], v[113:114]
	v_fma_f64 v[137:138], v[4:5], v[8:9], -v[6:7]
	v_add_f64 v[0:1], v[103:104], v[107:108]
	v_fma_f64 v[10:11], v[10:11], -0.5, v[99:100]
	v_add_f64 v[4:5], v[99:100], v[79:80]
	s_waitcnt lgkmcnt(0)
	v_fma_f64 v[8:9], v[2:3], -0.5, v[14:15]
	v_add_f64 v[2:3], v[14:15], v[105:106]
	v_add_f64 v[14:15], v[81:82], v[77:78]
	v_fma_f64 v[6:7], v[0:1], -0.5, v[12:13]
	v_add_f64 v[0:1], v[12:13], v[103:104]
	v_add_f64 v[12:13], v[79:80], -v[75:76]
	v_add_f64 v[4:5], v[4:5], v[75:76]
	v_add_f64 v[26:27], v[2:3], v[113:114]
	v_fma_f64 v[14:15], v[14:15], -0.5, v[101:102]
	v_add_f64 v[22:23], v[0:1], v[107:108]
	v_fma_f64 v[18:19], v[12:13], s[4:5], v[14:15]
	v_fma_f64 v[12:13], v[12:13], s[6:7], v[14:15]
	;; [unrolled: 1-line block ×4, first 2 shown]
	v_add_f64 v[0:1], v[22:23], v[4:5]
	v_add_f64 v[4:5], v[22:23], -v[4:5]
	v_mul_f64 v[24:25], v[18:19], s[6:7]
	v_mul_f64 v[2:3], v[18:19], 0.5
	v_add_f64 v[18:19], v[105:106], -v[113:114]
	v_mul_f64 v[20:21], v[12:13], s[6:7]
	v_mul_f64 v[12:13], v[12:13], -0.5
	v_fma_f64 v[24:25], v[14:15], 0.5, v[24:25]
	v_fma_f64 v[14:15], v[14:15], s[4:5], v[2:3]
	v_fma_f64 v[30:31], v[18:19], s[6:7], v[6:7]
	;; [unrolled: 1-line block ×3, first 2 shown]
	v_fma_f64 v[20:21], v[10:11], -0.5, v[20:21]
	v_fma_f64 v[18:19], v[28:29], s[4:5], v[8:9]
	v_add_f64 v[2:3], v[26:27], v[16:17]
	v_fma_f64 v[28:29], v[28:29], s[6:7], v[8:9]
	v_fma_f64 v[77:78], v[10:11], s[4:5], v[12:13]
	v_add_f64 v[6:7], v[26:27], -v[16:17]
	v_add_f64 v[8:9], v[30:31], v[24:25]
	v_add_f64 v[12:13], v[30:31], -v[24:25]
	v_mul_u32_u24_e32 v24, 0x240, v54
	v_lshlrev_b32_sdwa v25, v62, v60 dst_sel:DWORD dst_unused:UNUSED_PAD src0_sel:DWORD src1_sel:BYTE_0
	v_add_f64 v[16:17], v[75:76], v[20:21]
	v_add_f64 v[20:21], v[75:76], -v[20:21]
	v_add3_u32 v75, 0, v24, v25
	v_mad_i32_i24 v60, v53, s11, v57
	v_add_f64 v[10:11], v[18:19], v[14:15]
	v_add_f64 v[14:15], v[18:19], -v[14:15]
	v_add_f64 v[18:19], v[28:29], v[77:78]
	v_add_f64 v[22:23], v[28:29], -v[77:78]
	v_mad_i32_i24 v54, v52, s11, v56
	ds_read_b128 v[24:27], v60
	ds_read_b128 v[28:31], v54
	s_waitcnt lgkmcnt(0)
	s_barrier
	ds_write_b128 v75, v[0:3]
	v_add_f64 v[0:1], v[69:70], v[36:37]
	ds_write_b128 v75, v[8:11] offset:96
	ds_write_b128 v75, v[16:19] offset:192
	;; [unrolled: 1-line block ×5, first 2 shown]
	v_add_f64 v[2:3], v[71:72], v[109:110]
	v_add_f64 v[8:9], v[67:68], -v[34:35]
	v_add_f64 v[4:5], v[95:96], v[67:68]
	v_add_f64 v[10:11], v[109:110], v[111:112]
	;; [unrolled: 1-line block ×4, first 2 shown]
	v_fma_f64 v[6:7], v[0:1], -0.5, v[97:98]
	v_add_f64 v[0:1], v[67:68], v[34:35]
	v_add_f64 v[16:17], v[2:3], v[111:112]
	;; [unrolled: 1-line block ×3, first 2 shown]
	v_add_f64 v[22:23], v[69:70], -v[36:37]
	v_add_f64 v[4:5], v[4:5], v[34:35]
	v_fma_f64 v[10:11], v[10:11], -0.5, v[71:72]
	v_fma_f64 v[12:13], v[12:13], -0.5, v[73:74]
	v_fma_f64 v[20:21], v[8:9], s[4:5], v[6:7]
	v_fma_f64 v[18:19], v[0:1], -0.5, v[95:96]
	v_fma_f64 v[6:7], v[8:9], s[6:7], v[6:7]
	v_add_f64 v[14:15], v[14:15], v[32:33]
	v_add_f64 v[34:35], v[2:3], v[36:37]
	v_add_f64 v[32:33], v[115:116], -v[32:33]
	v_add_f64 v[67:68], v[109:110], -v[111:112]
	v_add_f64 v[0:1], v[16:17], v[4:5]
	v_mul_f64 v[8:9], v[20:21], s[6:7]
	v_fma_f64 v[36:37], v[22:23], s[6:7], v[18:19]
	v_mul_f64 v[20:21], v[20:21], 0.5
	v_fma_f64 v[18:19], v[22:23], s[4:5], v[18:19]
	v_mul_f64 v[22:23], v[6:7], s[6:7]
	v_mul_f64 v[6:7], v[6:7], -0.5
	v_fma_f64 v[71:72], v[67:68], s[4:5], v[12:13]
	v_add_f64 v[2:3], v[14:15], v[34:35]
	v_fma_f64 v[67:68], v[67:68], s[6:7], v[12:13]
	v_fma_f64 v[69:70], v[36:37], 0.5, v[8:9]
	v_fma_f64 v[20:21], v[36:37], s[4:5], v[20:21]
	v_fma_f64 v[36:37], v[32:33], s[6:7], v[10:11]
	;; [unrolled: 1-line block ×3, first 2 shown]
	v_fma_f64 v[22:23], v[18:19], -0.5, v[22:23]
	v_fma_f64 v[73:74], v[18:19], s[4:5], v[6:7]
	v_add_f64 v[4:5], v[16:17], -v[4:5]
	v_add_f64 v[6:7], v[14:15], -v[34:35]
	;; [unrolled: 1-line block ×3, first 2 shown]
	v_add_f64 v[10:11], v[71:72], v[20:21]
	v_add_f64 v[14:15], v[71:72], -v[20:21]
	v_add_f64 v[8:9], v[36:37], v[69:70]
	v_add_f64 v[16:17], v[32:33], v[22:23]
	v_add_f64 v[20:21], v[32:33], -v[22:23]
	v_mul_u32_u24_e32 v32, 0x240, v63
	v_lshlrev_b32_e32 v33, 4, v64
	v_add3_u32 v32, 0, v32, v33
	ds_write_b128 v32, v[0:3]
	v_add_f64 v[0:1], v[121:122], v[129:130]
	v_add_f64 v[18:19], v[67:68], v[73:74]
	v_add_f64 v[12:13], v[36:37], -v[69:70]
	v_add_f64 v[22:23], v[67:68], -v[73:74]
	ds_write_b128 v32, v[8:11] offset:96
	ds_write_b128 v32, v[16:19] offset:192
	;; [unrolled: 1-line block ×5, first 2 shown]
	v_add_f64 v[2:3], v[24:25], v[42:43]
	v_fma_f64 v[6:7], v[0:1], -0.5, v[40:41]
	v_add_f64 v[0:1], v[119:120], v[127:128]
	v_add_f64 v[8:9], v[119:120], -v[127:128]
	v_add_f64 v[4:5], v[38:39], v[119:120]
	v_add_f64 v[10:11], v[42:43], v[123:124]
	;; [unrolled: 1-line block ×6, first 2 shown]
	v_fma_f64 v[18:19], v[0:1], -0.5, v[38:39]
	v_fma_f64 v[20:21], v[8:9], s[4:5], v[6:7]
	v_add_f64 v[22:23], v[121:122], -v[129:130]
	v_fma_f64 v[6:7], v[8:9], s[6:7], v[6:7]
	v_add_f64 v[4:5], v[4:5], v[127:128]
	v_fma_f64 v[10:11], v[10:11], -0.5, v[24:25]
	v_fma_f64 v[12:13], v[12:13], -0.5, v[26:27]
	v_add_f64 v[14:15], v[14:15], v[125:126]
	v_add_f64 v[24:25], v[2:3], v[129:130]
	v_mul_f64 v[8:9], v[20:21], s[6:7]
	v_fma_f64 v[26:27], v[22:23], s[6:7], v[18:19]
	v_mul_f64 v[20:21], v[20:21], 0.5
	v_add_f64 v[32:33], v[117:118], -v[125:126]
	v_fma_f64 v[18:19], v[22:23], s[4:5], v[18:19]
	v_mul_f64 v[22:23], v[6:7], s[6:7]
	v_mul_f64 v[6:7], v[6:7], -0.5
	v_add_f64 v[0:1], v[16:17], v[4:5]
	v_add_f64 v[2:3], v[14:15], v[24:25]
	v_fma_f64 v[36:37], v[26:27], 0.5, v[8:9]
	v_fma_f64 v[20:21], v[26:27], s[4:5], v[20:21]
	v_fma_f64 v[26:27], v[32:33], s[6:7], v[10:11]
	;; [unrolled: 1-line block ×5, first 2 shown]
	v_fma_f64 v[22:23], v[18:19], -0.5, v[22:23]
	v_fma_f64 v[40:41], v[18:19], s[4:5], v[6:7]
	v_add_f64 v[6:7], v[14:15], -v[24:25]
	v_mul_u32_u24_e32 v24, 0x240, v65
	v_lshlrev_b32_e32 v25, 4, v66
	v_add3_u32 v24, 0, v24, v25
	v_add_f64 v[8:9], v[26:27], v[36:37]
	v_add_f64 v[10:11], v[38:39], v[20:21]
	ds_write_b128 v24, v[0:3]
	v_add_f64 v[0:1], v[133:134], v[137:138]
	v_add_f64 v[4:5], v[16:17], -v[4:5]
	v_add_f64 v[16:17], v[32:33], v[22:23]
	v_add_f64 v[18:19], v[34:35], v[40:41]
	v_add_f64 v[12:13], v[26:27], -v[36:37]
	v_add_f64 v[14:15], v[38:39], -v[20:21]
	;; [unrolled: 1-line block ×4, first 2 shown]
	ds_write_b128 v24, v[8:11] offset:96
	ds_write_b128 v24, v[16:19] offset:192
	;; [unrolled: 1-line block ×5, first 2 shown]
	v_fma_f64 v[6:7], v[0:1], -0.5, v[85:86]
	v_add_f64 v[0:1], v[131:132], v[135:136]
	v_add_f64 v[8:9], v[131:132], -v[135:136]
	v_add_f64 v[2:3], v[28:29], v[87:88]
	v_add_f64 v[10:11], v[87:88], v[91:92]
	;; [unrolled: 1-line block ×3, first 2 shown]
	v_add_f64 v[22:23], v[133:134], -v[137:138]
	v_add_f64 v[4:5], v[83:84], v[131:132]
	v_add_f64 v[14:15], v[30:31], v[89:90]
	v_fma_f64 v[18:19], v[0:1], -0.5, v[83:84]
	v_fma_f64 v[20:21], v[8:9], s[4:5], v[6:7]
	v_fma_f64 v[6:7], v[8:9], s[6:7], v[6:7]
	v_add_f64 v[16:17], v[2:3], v[91:92]
	v_add_f64 v[2:3], v[85:86], v[133:134]
	v_fma_f64 v[10:11], v[10:11], -0.5, v[28:29]
	v_fma_f64 v[12:13], v[12:13], -0.5, v[30:31]
	v_add_f64 v[28:29], v[89:90], -v[93:94]
	v_fma_f64 v[26:27], v[22:23], s[6:7], v[18:19]
	v_mul_f64 v[8:9], v[20:21], s[6:7]
	v_mul_f64 v[20:21], v[20:21], 0.5
	v_add_f64 v[30:31], v[87:88], -v[91:92]
	v_fma_f64 v[18:19], v[22:23], s[4:5], v[18:19]
	v_mul_f64 v[22:23], v[6:7], s[6:7]
	v_mul_f64 v[6:7], v[6:7], -0.5
	v_add_f64 v[4:5], v[4:5], v[135:136]
	v_add_f64 v[14:15], v[14:15], v[93:94]
	;; [unrolled: 1-line block ×3, first 2 shown]
	v_fma_f64 v[32:33], v[26:27], 0.5, v[8:9]
	v_fma_f64 v[20:21], v[26:27], s[4:5], v[20:21]
	v_fma_f64 v[26:27], v[28:29], s[6:7], v[10:11]
	;; [unrolled: 1-line block ×5, first 2 shown]
	v_fma_f64 v[22:23], v[18:19], -0.5, v[22:23]
	v_fma_f64 v[36:37], v[18:19], s[4:5], v[6:7]
	v_add_f64 v[0:1], v[16:17], v[4:5]
	v_add_f64 v[2:3], v[14:15], v[24:25]
	;; [unrolled: 1-line block ×4, first 2 shown]
	v_add_f64 v[4:5], v[16:17], -v[4:5]
	v_add_f64 v[6:7], v[14:15], -v[24:25]
	v_add_f64 v[16:17], v[28:29], v[22:23]
	v_add_f64 v[18:19], v[30:31], v[36:37]
	v_add_f64 v[12:13], v[26:27], -v[32:33]
	v_add_f64 v[14:15], v[34:35], -v[20:21]
	;; [unrolled: 1-line block ×4, first 2 shown]
	v_mul_u32_u24_e32 v24, 0x240, v139
	v_lshlrev_b32_e32 v25, 4, v140
	v_add3_u32 v24, 0, v24, v25
	ds_write_b128 v24, v[0:3]
	ds_write_b128 v24, v[8:11] offset:96
	ds_write_b128 v24, v[16:19] offset:192
	;; [unrolled: 1-line block ×5, first 2 shown]
	v_mov_b32_e32 v0, 57
	v_mul_lo_u16_sdwa v0, v44, v0 dst_sel:DWORD dst_unused:UNUSED_PAD src0_sel:BYTE_0 src1_sel:DWORD
	v_lshrrev_b16_e32 v64, 11, v0
	v_mul_lo_u16_e32 v0, 36, v64
	v_sub_u16_e32 v65, v44, v0
	v_mul_u32_u24_sdwa v0, v65, v61 dst_sel:DWORD dst_unused:UNUSED_PAD src0_sel:BYTE_0 src1_sel:DWORD
	v_lshlrev_b32_e32 v16, 4, v0
	s_waitcnt lgkmcnt(0)
	s_barrier
	global_load_dwordx4 v[0:3], v16, s[8:9] offset:480
	global_load_dwordx4 v[4:7], v16, s[8:9] offset:496
	;; [unrolled: 1-line block ×4, first 2 shown]
	v_mul_u32_u24_sdwa v17, v46, s10 dst_sel:DWORD dst_unused:UNUSED_PAD src0_sel:WORD_0 src1_sel:DWORD
	v_lshrrev_b32_e32 v61, 21, v17
	v_mul_lo_u16_e32 v20, 36, v61
	global_load_dwordx4 v[16:19], v16, s[8:9] offset:544
	v_sub_u16_e32 v63, v46, v20
	v_mul_u32_u24_e32 v20, 5, v63
	v_lshlrev_b32_e32 v40, 4, v20
	global_load_dwordx4 v[20:23], v40, s[8:9] offset:480
	global_load_dwordx4 v[24:27], v40, s[8:9] offset:496
	;; [unrolled: 1-line block ×5, first 2 shown]
	ds_read_b128 v[40:43], v59
	ds_read_b128 v[66:69], v47
	ds_read_b128 v[70:73], v55 offset:18432
	ds_read_b128 v[74:77], v55 offset:16128
	;; [unrolled: 1-line block ×3, first 2 shown]
	s_waitcnt vmcnt(9) lgkmcnt(4)
	v_mul_f64 v[82:83], v[42:43], v[2:3]
	v_mul_f64 v[2:3], v[40:41], v[2:3]
	s_waitcnt vmcnt(8) lgkmcnt(2)
	v_mul_f64 v[94:95], v[72:73], v[6:7]
	v_mul_f64 v[6:7], v[70:71], v[6:7]
	v_fma_f64 v[96:97], v[40:41], v[0:1], v[82:83]
	ds_read_b128 v[82:85], v55 offset:36864
	ds_read_b128 v[86:89], v55 offset:25344
	s_waitcnt vmcnt(7) lgkmcnt(2)
	v_mul_f64 v[40:41], v[80:81], v[10:11]
	v_mul_f64 v[10:11], v[78:79], v[10:11]
	ds_read_b128 v[90:93], v55 offset:34560
	s_waitcnt vmcnt(6) lgkmcnt(2)
	v_mul_f64 v[98:99], v[84:85], v[14:15]
	v_mul_f64 v[14:15], v[82:83], v[14:15]
	v_fma_f64 v[100:101], v[42:43], v[0:1], -v[2:3]
	ds_read_b128 v[0:3], v55 offset:46080
	v_fma_f64 v[94:95], v[70:71], v[4:5], v[94:95]
	v_fma_f64 v[102:103], v[72:73], v[4:5], -v[6:7]
	v_fma_f64 v[78:79], v[78:79], v[8:9], v[40:41]
	v_fma_f64 v[80:81], v[80:81], v[8:9], -v[10:11]
	ds_read_b128 v[4:7], v55 offset:43776
	ds_read_b128 v[8:11], v55 offset:11520
	v_fma_f64 v[82:83], v[82:83], v[12:13], v[98:99]
	v_fma_f64 v[84:85], v[84:85], v[12:13], -v[14:15]
	ds_read_b128 v[12:15], v55 offset:20736
	ds_read_b128 v[40:43], v55 offset:13824
	s_waitcnt vmcnt(5) lgkmcnt(4)
	v_mul_f64 v[98:99], v[2:3], v[18:19]
	v_mul_f64 v[18:19], v[0:1], v[18:19]
	s_waitcnt vmcnt(4) lgkmcnt(2)
	v_mul_f64 v[104:105], v[10:11], v[22:23]
	v_mul_f64 v[22:23], v[8:9], v[22:23]
	;; [unrolled: 3-line block ×3, first 2 shown]
	ds_read_b128 v[70:73], v55 offset:23040
	v_fma_f64 v[98:99], v[0:1], v[16:17], v[98:99]
	v_fma_f64 v[108:109], v[2:3], v[16:17], -v[18:19]
	ds_read_b128 v[0:3], v55 offset:29952
	v_fma_f64 v[104:105], v[8:9], v[20:21], v[104:105]
	v_fma_f64 v[110:111], v[10:11], v[20:21], -v[22:23]
	v_fma_f64 v[106:107], v[12:13], v[24:25], v[106:107]
	v_fma_f64 v[112:113], v[14:15], v[24:25], -v[26:27]
	ds_read_b128 v[8:11], v55 offset:39168
	ds_read_b128 v[12:15], v55 offset:32256
	s_waitcnt vmcnt(2) lgkmcnt(2)
	v_mul_f64 v[20:21], v[2:3], v[30:31]
	v_mul_f64 v[24:25], v[0:1], v[30:31]
	ds_read_b128 v[16:19], v55 offset:41472
	s_waitcnt vmcnt(1) lgkmcnt(2)
	v_mul_f64 v[26:27], v[10:11], v[34:35]
	v_mul_f64 v[30:31], v[8:9], v[34:35]
	v_fma_f64 v[34:35], v[0:1], v[28:29], v[20:21]
	ds_read_b128 v[20:23], v55 offset:48384
	v_fma_f64 v[114:115], v[2:3], v[28:29], -v[24:25]
	v_fma_f64 v[116:117], v[8:9], v[32:33], v[26:27]
	v_mul_u32_u24_sdwa v8, v53, s10 dst_sel:DWORD dst_unused:UNUSED_PAD src0_sel:WORD_0 src1_sel:DWORD
	v_lshrrev_b32_e32 v138, 21, v8
	v_mul_lo_u16_e32 v8, 36, v138
	v_sub_u16_e32 v139, v53, v8
	v_mul_u32_u24_e32 v8, 5, v139
	v_lshlrev_b32_e32 v28, 4, v8
	v_fma_f64 v[32:33], v[10:11], v[32:33], -v[30:31]
	s_waitcnt vmcnt(0) lgkmcnt(0)
	v_mul_f64 v[24:25], v[22:23], v[38:39]
	global_load_dwordx4 v[8:11], v28, s[8:9] offset:480
	v_mul_f64 v[26:27], v[20:21], v[38:39]
	ds_read_b128 v[0:3], v55 offset:50688
	v_fma_f64 v[38:39], v[20:21], v[36:37], v[24:25]
	v_fma_f64 v[36:37], v[22:23], v[36:37], -v[26:27]
	global_load_dwordx4 v[20:23], v28, s[8:9] offset:496
	s_waitcnt vmcnt(1)
	v_mul_f64 v[24:25], v[42:43], v[10:11]
	v_mul_f64 v[10:11], v[40:41], v[10:11]
	v_fma_f64 v[40:41], v[40:41], v[8:9], v[24:25]
	v_fma_f64 v[42:43], v[42:43], v[8:9], -v[10:11]
	s_waitcnt vmcnt(0)
	v_mul_f64 v[24:25], v[72:73], v[22:23]
	global_load_dwordx4 v[8:11], v28, s[8:9] offset:512
	v_mul_f64 v[22:23], v[70:71], v[22:23]
	v_fma_f64 v[70:71], v[70:71], v[20:21], v[24:25]
	v_fma_f64 v[72:73], v[72:73], v[20:21], -v[22:23]
	global_load_dwordx4 v[20:23], v28, s[8:9] offset:528
	s_waitcnt vmcnt(1)
	v_mul_f64 v[24:25], v[14:15], v[10:11]
	v_mul_f64 v[10:11], v[12:13], v[10:11]
	v_fma_f64 v[118:119], v[12:13], v[8:9], v[24:25]
	v_fma_f64 v[120:121], v[14:15], v[8:9], -v[10:11]
	s_waitcnt vmcnt(0)
	v_mul_f64 v[12:13], v[18:19], v[22:23]
	global_load_dwordx4 v[8:11], v28, s[8:9] offset:544
	v_mul_f64 v[14:15], v[16:17], v[22:23]
	v_add_f64 v[22:23], v[80:81], -v[108:109]
	v_add_f64 v[24:25], v[94:95], -v[82:83]
	v_fma_f64 v[122:123], v[16:17], v[20:21], v[12:13]
	v_mul_u32_u24_sdwa v12, v52, s10 dst_sel:DWORD dst_unused:UNUSED_PAD src0_sel:WORD_0 src1_sel:DWORD
	v_lshrrev_b32_e32 v140, 21, v12
	v_mul_lo_u16_e32 v12, 36, v140
	v_sub_u16_e32 v141, v52, v12
	v_mul_u32_u24_e32 v12, 5, v141
	v_fma_f64 v[124:125], v[18:19], v[20:21], -v[14:15]
	v_lshlrev_b32_e32 v18, 4, v12
	global_load_dwordx4 v[12:15], v18, s[8:9] offset:480
	v_add_f64 v[20:21], v[100:101], v[80:81]
	v_add_f64 v[20:21], v[20:21], v[108:109]
	s_waitcnt vmcnt(1) lgkmcnt(0)
	v_mul_f64 v[16:17], v[2:3], v[10:11]
	v_mul_f64 v[10:11], v[0:1], v[10:11]
	v_fma_f64 v[126:127], v[0:1], v[8:9], v[16:17]
	v_fma_f64 v[128:129], v[2:3], v[8:9], -v[10:11]
	global_load_dwordx4 v[0:3], v18, s[8:9] offset:496
	v_add_f64 v[16:17], v[80:81], v[108:109]
	s_waitcnt vmcnt(1)
	v_mul_f64 v[8:9], v[76:77], v[14:15]
	v_mul_f64 v[10:11], v[74:75], v[14:15]
	v_add_f64 v[14:15], v[102:103], -v[84:85]
	v_fma_f64 v[16:17], v[16:17], -0.5, v[100:101]
	v_fma_f64 v[74:75], v[74:75], v[12:13], v[8:9]
	v_fma_f64 v[76:77], v[76:77], v[12:13], -v[10:11]
	global_load_dwordx4 v[8:11], v18, s[8:9] offset:512
	s_waitcnt vmcnt(1)
	v_mul_f64 v[12:13], v[88:89], v[2:3]
	v_mul_f64 v[2:3], v[86:87], v[2:3]
	v_fma_f64 v[86:87], v[86:87], v[0:1], v[12:13]
	v_fma_f64 v[88:89], v[88:89], v[0:1], -v[2:3]
	global_load_dwordx4 v[0:3], v18, s[8:9] offset:528
	s_waitcnt vmcnt(1)
	v_mul_f64 v[12:13], v[92:93], v[10:11]
	v_mul_f64 v[10:11], v[90:91], v[10:11]
	;; [unrolled: 6-line block ×3, first 2 shown]
	v_fma_f64 v[130:131], v[4:5], v[0:1], v[12:13]
	v_fma_f64 v[132:133], v[6:7], v[0:1], -v[2:3]
	ds_read_b128 v[0:3], v55 offset:52992
	ds_read_b128 v[4:7], v55
	s_waitcnt vmcnt(0) lgkmcnt(1)
	v_mul_f64 v[12:13], v[2:3], v[10:11]
	v_fma_f64 v[134:135], v[0:1], v[8:9], v[12:13]
	v_mul_f64 v[0:1], v[0:1], v[10:11]
	v_add_f64 v[10:11], v[78:79], v[98:99]
	v_add_f64 v[12:13], v[78:79], -v[98:99]
	v_fma_f64 v[136:137], v[2:3], v[8:9], -v[0:1]
	v_fma_f64 v[10:11], v[10:11], -0.5, v[96:97]
	v_fma_f64 v[18:19], v[12:13], s[4:5], v[16:17]
	v_add_f64 v[0:1], v[94:95], v[82:83]
	v_add_f64 v[2:3], v[102:103], v[84:85]
	v_fma_f64 v[12:13], v[12:13], s[6:7], v[16:17]
	v_add_f64 v[8:9], v[96:97], v[78:79]
	v_fma_f64 v[16:17], v[22:23], s[6:7], v[10:11]
	v_mul_f64 v[26:27], v[18:19], s[6:7]
	v_mul_f64 v[18:19], v[18:19], 0.5
	s_waitcnt lgkmcnt(0)
	v_fma_f64 v[0:1], v[0:1], -0.5, v[4:5]
	v_fma_f64 v[2:3], v[2:3], -0.5, v[6:7]
	v_add_f64 v[4:5], v[4:5], v[94:95]
	v_add_f64 v[6:7], v[6:7], v[102:103]
	v_fma_f64 v[10:11], v[22:23], s[4:5], v[10:11]
	v_add_f64 v[8:9], v[8:9], v[98:99]
	v_fma_f64 v[26:27], v[16:17], 0.5, v[26:27]
	v_fma_f64 v[16:17], v[16:17], s[4:5], v[18:19]
	v_mul_f64 v[18:19], v[12:13], s[6:7]
	v_mul_f64 v[12:13], v[12:13], -0.5
	v_add_f64 v[4:5], v[4:5], v[82:83]
	v_add_f64 v[6:7], v[6:7], v[84:85]
	v_fma_f64 v[22:23], v[14:15], s[6:7], v[0:1]
	v_fma_f64 v[28:29], v[24:25], s[4:5], v[2:3]
	;; [unrolled: 1-line block ×4, first 2 shown]
	v_fma_f64 v[78:79], v[10:11], -0.5, v[18:19]
	v_fma_f64 v[80:81], v[10:11], s[4:5], v[12:13]
	v_add_f64 v[0:1], v[4:5], v[8:9]
	v_add_f64 v[2:3], v[6:7], v[20:21]
	v_add_f64 v[4:5], v[4:5], -v[8:9]
	v_add_f64 v[8:9], v[22:23], v[26:27]
	v_add_f64 v[12:13], v[22:23], -v[26:27]
	v_add_f64 v[6:7], v[6:7], -v[20:21]
	v_add_f64 v[10:11], v[28:29], v[16:17]
	v_add_f64 v[18:19], v[24:25], v[80:81]
	v_add_f64 v[22:23], v[24:25], -v[80:81]
	v_lshlrev_b32_sdwa v24, v62, v65 dst_sel:DWORD dst_unused:UNUSED_PAD src0_sel:DWORD src1_sel:BYTE_0
	v_mul_u32_u24_e32 v25, 0xd80, v64
	v_add3_u32 v62, 0, v25, v24
	v_add_f64 v[14:15], v[28:29], -v[16:17]
	v_add_f64 v[16:17], v[30:31], v[78:79]
	v_add_f64 v[20:21], v[30:31], -v[78:79]
	ds_read_b128 v[24:27], v60
	ds_read_b128 v[28:31], v54
	s_waitcnt lgkmcnt(0)
	s_barrier
	ds_write_b128 v62, v[0:3]
	v_add_f64 v[0:1], v[114:115], v[36:37]
	ds_write_b128 v62, v[8:11] offset:576
	ds_write_b128 v62, v[16:19] offset:1152
	ds_write_b128 v62, v[4:7] offset:1728
	ds_write_b128 v62, v[12:15] offset:2304
	ds_write_b128 v62, v[20:23] offset:2880
	v_add_f64 v[2:3], v[66:67], v[106:107]
	v_add_f64 v[8:9], v[34:35], -v[38:39]
	v_add_f64 v[4:5], v[104:105], v[34:35]
	v_add_f64 v[10:11], v[106:107], v[116:117]
	;; [unrolled: 1-line block ×4, first 2 shown]
	v_fma_f64 v[6:7], v[0:1], -0.5, v[110:111]
	v_add_f64 v[0:1], v[34:35], v[38:39]
	v_add_f64 v[16:17], v[2:3], v[116:117]
	v_add_f64 v[2:3], v[110:111], v[114:115]
	v_add_f64 v[22:23], v[114:115], -v[36:37]
	v_add_f64 v[4:5], v[4:5], v[38:39]
	v_fma_f64 v[10:11], v[10:11], -0.5, v[66:67]
	v_fma_f64 v[12:13], v[12:13], -0.5, v[68:69]
	v_fma_f64 v[20:21], v[8:9], s[4:5], v[6:7]
	v_fma_f64 v[18:19], v[0:1], -0.5, v[104:105]
	v_fma_f64 v[6:7], v[8:9], s[6:7], v[6:7]
	v_add_f64 v[14:15], v[14:15], v[32:33]
	v_add_f64 v[34:35], v[2:3], v[36:37]
	v_add_f64 v[32:33], v[112:113], -v[32:33]
	v_add_f64 v[38:39], v[106:107], -v[116:117]
	v_add_f64 v[0:1], v[16:17], v[4:5]
	v_mul_f64 v[8:9], v[20:21], s[6:7]
	v_fma_f64 v[36:37], v[22:23], s[6:7], v[18:19]
	v_mul_f64 v[20:21], v[20:21], 0.5
	v_fma_f64 v[18:19], v[22:23], s[4:5], v[18:19]
	v_mul_f64 v[22:23], v[6:7], s[6:7]
	v_mul_f64 v[6:7], v[6:7], -0.5
	v_fma_f64 v[66:67], v[38:39], s[4:5], v[12:13]
	v_add_f64 v[2:3], v[14:15], v[34:35]
	v_fma_f64 v[38:39], v[38:39], s[6:7], v[12:13]
	v_fma_f64 v[64:65], v[36:37], 0.5, v[8:9]
	v_fma_f64 v[20:21], v[36:37], s[4:5], v[20:21]
	v_fma_f64 v[36:37], v[32:33], s[6:7], v[10:11]
	;; [unrolled: 1-line block ×3, first 2 shown]
	v_fma_f64 v[22:23], v[18:19], -0.5, v[22:23]
	v_fma_f64 v[68:69], v[18:19], s[4:5], v[6:7]
	v_add_f64 v[4:5], v[16:17], -v[4:5]
	v_add_f64 v[6:7], v[14:15], -v[34:35]
	;; [unrolled: 1-line block ×3, first 2 shown]
	v_add_f64 v[10:11], v[66:67], v[20:21]
	v_add_f64 v[14:15], v[66:67], -v[20:21]
	v_add_f64 v[8:9], v[36:37], v[64:65]
	v_add_f64 v[16:17], v[32:33], v[22:23]
	v_add_f64 v[20:21], v[32:33], -v[22:23]
	v_mul_u32_u24_e32 v32, 0xd80, v61
	v_lshlrev_b32_e32 v33, 4, v63
	v_add3_u32 v32, 0, v32, v33
	ds_write_b128 v32, v[0:3]
	v_add_f64 v[0:1], v[120:121], v[128:129]
	v_add_f64 v[18:19], v[38:39], v[68:69]
	v_add_f64 v[12:13], v[36:37], -v[64:65]
	v_add_f64 v[22:23], v[38:39], -v[68:69]
	ds_write_b128 v32, v[8:11] offset:576
	ds_write_b128 v32, v[16:19] offset:1152
	;; [unrolled: 1-line block ×5, first 2 shown]
	v_add_f64 v[2:3], v[24:25], v[70:71]
	v_fma_f64 v[6:7], v[0:1], -0.5, v[42:43]
	v_add_f64 v[0:1], v[118:119], v[126:127]
	v_add_f64 v[8:9], v[118:119], -v[126:127]
	v_add_f64 v[4:5], v[40:41], v[118:119]
	v_add_f64 v[10:11], v[70:71], v[122:123]
	;; [unrolled: 1-line block ×6, first 2 shown]
	v_fma_f64 v[18:19], v[0:1], -0.5, v[40:41]
	v_fma_f64 v[20:21], v[8:9], s[4:5], v[6:7]
	v_add_f64 v[22:23], v[120:121], -v[128:129]
	v_fma_f64 v[6:7], v[8:9], s[6:7], v[6:7]
	v_add_f64 v[4:5], v[4:5], v[126:127]
	v_fma_f64 v[10:11], v[10:11], -0.5, v[24:25]
	v_fma_f64 v[12:13], v[12:13], -0.5, v[26:27]
	v_add_f64 v[14:15], v[14:15], v[124:125]
	v_add_f64 v[24:25], v[2:3], v[128:129]
	v_mul_f64 v[8:9], v[20:21], s[6:7]
	v_fma_f64 v[26:27], v[22:23], s[6:7], v[18:19]
	v_mul_f64 v[20:21], v[20:21], 0.5
	v_add_f64 v[32:33], v[72:73], -v[124:125]
	v_fma_f64 v[18:19], v[22:23], s[4:5], v[18:19]
	v_mul_f64 v[22:23], v[6:7], s[6:7]
	v_mul_f64 v[6:7], v[6:7], -0.5
	v_add_f64 v[0:1], v[16:17], v[4:5]
	v_add_f64 v[2:3], v[14:15], v[24:25]
	v_fma_f64 v[36:37], v[26:27], 0.5, v[8:9]
	v_fma_f64 v[20:21], v[26:27], s[4:5], v[20:21]
	v_fma_f64 v[26:27], v[32:33], s[6:7], v[10:11]
	;; [unrolled: 1-line block ×5, first 2 shown]
	v_fma_f64 v[22:23], v[18:19], -0.5, v[22:23]
	v_fma_f64 v[40:41], v[18:19], s[4:5], v[6:7]
	v_add_f64 v[6:7], v[14:15], -v[24:25]
	v_mul_u32_u24_e32 v24, 0xd80, v138
	v_lshlrev_b32_e32 v25, 4, v139
	v_add3_u32 v24, 0, v24, v25
	v_add_f64 v[8:9], v[26:27], v[36:37]
	v_add_f64 v[10:11], v[38:39], v[20:21]
	ds_write_b128 v24, v[0:3]
	v_add_f64 v[0:1], v[92:93], v[136:137]
	v_add_f64 v[4:5], v[16:17], -v[4:5]
	v_add_f64 v[16:17], v[32:33], v[22:23]
	v_add_f64 v[18:19], v[34:35], v[40:41]
	v_add_f64 v[12:13], v[26:27], -v[36:37]
	v_add_f64 v[14:15], v[38:39], -v[20:21]
	;; [unrolled: 1-line block ×4, first 2 shown]
	ds_write_b128 v24, v[8:11] offset:576
	ds_write_b128 v24, v[16:19] offset:1152
	;; [unrolled: 1-line block ×5, first 2 shown]
	v_fma_f64 v[6:7], v[0:1], -0.5, v[76:77]
	v_add_f64 v[0:1], v[90:91], v[134:135]
	v_add_f64 v[8:9], v[90:91], -v[134:135]
	v_add_f64 v[2:3], v[28:29], v[86:87]
	v_add_f64 v[10:11], v[86:87], v[130:131]
	;; [unrolled: 1-line block ×3, first 2 shown]
	v_add_f64 v[22:23], v[92:93], -v[136:137]
	v_add_f64 v[4:5], v[74:75], v[90:91]
	v_add_f64 v[14:15], v[30:31], v[88:89]
	v_fma_f64 v[18:19], v[0:1], -0.5, v[74:75]
	v_fma_f64 v[20:21], v[8:9], s[4:5], v[6:7]
	v_fma_f64 v[6:7], v[8:9], s[6:7], v[6:7]
	v_add_f64 v[16:17], v[2:3], v[130:131]
	v_add_f64 v[2:3], v[76:77], v[92:93]
	v_fma_f64 v[10:11], v[10:11], -0.5, v[28:29]
	v_fma_f64 v[12:13], v[12:13], -0.5, v[30:31]
	v_add_f64 v[28:29], v[88:89], -v[132:133]
	v_fma_f64 v[26:27], v[22:23], s[6:7], v[18:19]
	v_mul_f64 v[8:9], v[20:21], s[6:7]
	v_mul_f64 v[20:21], v[20:21], 0.5
	v_add_f64 v[30:31], v[86:87], -v[130:131]
	v_fma_f64 v[18:19], v[22:23], s[4:5], v[18:19]
	v_mul_f64 v[22:23], v[6:7], s[6:7]
	v_mul_f64 v[6:7], v[6:7], -0.5
	v_add_f64 v[4:5], v[4:5], v[134:135]
	v_add_f64 v[14:15], v[14:15], v[132:133]
	v_add_f64 v[24:25], v[2:3], v[136:137]
	v_fma_f64 v[32:33], v[26:27], 0.5, v[8:9]
	v_fma_f64 v[20:21], v[26:27], s[4:5], v[20:21]
	v_fma_f64 v[26:27], v[28:29], s[6:7], v[10:11]
	;; [unrolled: 1-line block ×5, first 2 shown]
	v_fma_f64 v[22:23], v[18:19], -0.5, v[22:23]
	v_fma_f64 v[36:37], v[18:19], s[4:5], v[6:7]
	v_add_f64 v[0:1], v[16:17], v[4:5]
	v_add_f64 v[2:3], v[14:15], v[24:25]
	;; [unrolled: 1-line block ×4, first 2 shown]
	v_add_f64 v[4:5], v[16:17], -v[4:5]
	v_add_f64 v[6:7], v[14:15], -v[24:25]
	v_add_f64 v[16:17], v[28:29], v[22:23]
	v_add_f64 v[18:19], v[30:31], v[36:37]
	v_add_f64 v[12:13], v[26:27], -v[32:33]
	v_add_f64 v[14:15], v[34:35], -v[20:21]
	;; [unrolled: 1-line block ×4, first 2 shown]
	v_mul_u32_u24_e32 v24, 0xd80, v140
	v_lshlrev_b32_e32 v25, 4, v141
	v_add3_u32 v24, 0, v24, v25
	ds_write_b128 v24, v[0:3]
	ds_write_b128 v24, v[8:11] offset:576
	ds_write_b128 v24, v[16:19] offset:1152
	;; [unrolled: 1-line block ×5, first 2 shown]
	v_mul_u32_u24_e32 v0, 3, v44
	v_lshlrev_b32_e32 v3, 4, v0
	s_waitcnt lgkmcnt(0)
	s_barrier
	global_load_dwordx4 v[8:11], v3, s[8:9] offset:3360
	global_load_dwordx4 v[12:15], v3, s[8:9] offset:3376
	;; [unrolled: 1-line block ×3, first 2 shown]
	s_movk_i32 s4, 0x48
	v_add_u32_e32 v0, 0xffffffb8, v44
	v_cmp_gt_u32_e32 vcc, s4, v44
	v_cndmask_b32_e32 v4, v0, v46, vcc
	v_mov_b32_e32 v1, 0
	v_mul_i32_i24_e32 v0, 3, v4
	v_lshlrev_b64 v[5:6], 4, v[0:1]
	v_mov_b32_e32 v2, s9
	v_add_co_u32_e32 v5, vcc, s8, v5
	v_addc_co_u32_e32 v6, vcc, v2, v6, vcc
	global_load_dwordx4 v[20:23], v[5:6], off offset:3360
	global_load_dwordx4 v[24:27], v[5:6], off offset:3376
	;; [unrolled: 1-line block ×3, first 2 shown]
	v_add_co_u32_e32 v0, vcc, s8, v3
	s_movk_i32 s4, 0x1000
	v_addc_co_u32_e32 v3, vcc, 0, v2, vcc
	v_add_co_u32_e32 v5, vcc, s4, v0
	v_addc_co_u32_e32 v6, vcc, 0, v3, vcc
	global_load_dwordx4 v[32:35], v[5:6], off offset:2720
	s_movk_i32 s4, 0x1aa0
	v_add_co_u32_e32 v5, vcc, s4, v0
	v_addc_co_u32_e32 v6, vcc, 0, v3, vcc
	global_load_dwordx4 v[36:39], v[5:6], off offset:16
	global_load_dwordx4 v[40:43], v[5:6], off offset:32
	v_lshrrev_b16_e32 v5, 3, v52
	v_mul_u32_u24_e32 v5, 0x12f7, v5
	v_lshrrev_b32_e32 v5, 17, v5
	v_mul_lo_u16_e32 v5, 0xd8, v5
	v_sub_u16_e32 v7, v52, v5
	v_mul_u32_u24_e32 v5, 3, v7
	v_lshlrev_b32_e32 v5, 4, v5
	global_load_dwordx4 v[61:64], v5, s[8:9] offset:3360
	global_load_dwordx4 v[65:68], v5, s[8:9] offset:3376
	;; [unrolled: 1-line block ×3, first 2 shown]
	v_lshrrev_b16_e32 v5, 3, v51
	v_mul_u32_u24_e32 v5, 0x12f7, v5
	v_lshrrev_b32_e32 v6, 17, v5
	ds_read_b128 v[73:76], v55 offset:13824
	ds_read_b128 v[77:80], v55 offset:16128
	v_mul_lo_u16_e32 v5, 0xd8, v6
	v_sub_u16_e32 v5, v51, v5
	v_mul_u32_u24_e32 v81, 3, v5
	v_lshlrev_b32_e32 v121, 4, v81
	global_load_dwordx4 v[81:84], v121, s[8:9] offset:3360
	ds_read_b128 v[85:88], v55 offset:27648
	s_movk_i32 s4, 0x47
	v_cmp_lt_u32_e32 vcc, s4, v44
	v_lshlrev_b32_e32 v4, 4, v4
	v_lshlrev_b32_e32 v5, 4, v5
	s_movk_i32 s5, 0x3000
	s_movk_i32 s4, 0x35a0
	s_add_u32 s6, s8, 0xd7a0
	s_addc_u32 s7, s9, 0
	s_waitcnt vmcnt(12) lgkmcnt(2)
	v_mul_f64 v[89:90], v[75:76], v[10:11]
	v_mul_f64 v[10:11], v[73:74], v[10:11]
	s_waitcnt vmcnt(11) lgkmcnt(0)
	v_mul_f64 v[101:102], v[87:88], v[14:15]
	v_mul_f64 v[14:15], v[85:86], v[14:15]
	v_fma_f64 v[97:98], v[73:74], v[8:9], v[89:90]
	v_fma_f64 v[99:100], v[75:76], v[8:9], -v[10:11]
	ds_read_b128 v[8:11], v55 offset:41472
	ds_read_b128 v[73:76], v55 offset:29952
	global_load_dwordx4 v[93:96], v121, s[8:9] offset:3376
	ds_read_b128 v[89:92], v55 offset:39168
	s_waitcnt vmcnt(10)
	v_mul_f64 v[105:106], v[79:80], v[22:23]
	s_waitcnt lgkmcnt(2)
	v_mul_f64 v[103:104], v[10:11], v[18:19]
	v_mul_f64 v[18:19], v[8:9], v[18:19]
	v_fma_f64 v[85:86], v[85:86], v[12:13], v[101:102]
	v_mul_f64 v[22:23], v[77:78], v[22:23]
	v_fma_f64 v[87:88], v[87:88], v[12:13], -v[14:15]
	v_fma_f64 v[77:78], v[77:78], v[20:21], v[105:106]
	v_fma_f64 v[101:102], v[8:9], v[16:17], v[103:104]
	v_fma_f64 v[103:104], v[10:11], v[16:17], -v[18:19]
	ds_read_b128 v[8:11], v55 offset:43776
	s_waitcnt vmcnt(9) lgkmcnt(2)
	v_mul_f64 v[105:106], v[75:76], v[26:27]
	v_mul_f64 v[26:27], v[73:74], v[26:27]
	ds_read_b128 v[12:15], v55 offset:46080
	ds_read_b128 v[16:19], v55 offset:18432
	v_fma_f64 v[79:80], v[79:80], v[20:21], -v[22:23]
	s_waitcnt vmcnt(8) lgkmcnt(2)
	v_mul_f64 v[107:108], v[10:11], v[30:31]
	v_mul_f64 v[30:31], v[8:9], v[30:31]
	ds_read_b128 v[20:23], v55 offset:20736
	s_waitcnt vmcnt(7) lgkmcnt(1)
	v_mul_f64 v[109:110], v[18:19], v[34:35]
	v_fma_f64 v[73:74], v[73:74], v[24:25], v[105:106]
	v_fma_f64 v[75:76], v[75:76], v[24:25], -v[26:27]
	ds_read_b128 v[24:27], v55 offset:32256
	v_fma_f64 v[105:106], v[8:9], v[28:29], v[107:108]
	v_mul_f64 v[8:9], v[16:17], v[34:35]
	v_fma_f64 v[107:108], v[10:11], v[28:29], -v[30:31]
	s_waitcnt vmcnt(6) lgkmcnt(0)
	v_mul_f64 v[10:11], v[26:27], v[38:39]
	v_fma_f64 v[109:110], v[16:17], v[32:33], v[109:110]
	v_mul_f64 v[16:17], v[24:25], v[38:39]
	ds_read_b128 v[28:31], v59
	s_waitcnt vmcnt(5)
	v_mul_f64 v[34:35], v[14:15], v[42:43]
	v_mul_f64 v[38:39], v[12:13], v[42:43]
	v_fma_f64 v[111:112], v[18:19], v[32:33], -v[8:9]
	s_waitcnt vmcnt(4)
	v_mul_f64 v[18:19], v[22:23], v[63:64]
	v_mul_f64 v[32:33], v[20:21], v[63:64]
	v_fma_f64 v[63:64], v[24:25], v[36:37], v[10:11]
	ds_read_b128 v[8:11], v55 offset:34560
	v_fma_f64 v[113:114], v[26:27], v[36:37], -v[16:17]
	v_fma_f64 v[115:116], v[12:13], v[40:41], v[34:35]
	v_fma_f64 v[117:118], v[14:15], v[40:41], -v[38:39]
	s_waitcnt vmcnt(3) lgkmcnt(0)
	v_mul_f64 v[24:25], v[10:11], v[67:68]
	v_mul_f64 v[26:27], v[8:9], v[67:68]
	v_fma_f64 v[119:120], v[20:21], v[61:62], v[18:19]
	ds_read_b128 v[12:15], v55 offset:48384
	ds_read_b128 v[16:19], v55 offset:36864
	v_fma_f64 v[61:62], v[22:23], v[61:62], -v[32:33]
	ds_read_b128 v[20:23], v55 offset:50688
	s_waitcnt vmcnt(2) lgkmcnt(2)
	v_mul_f64 v[32:33], v[14:15], v[71:72]
	v_mul_f64 v[34:35], v[12:13], v[71:72]
	v_fma_f64 v[67:68], v[8:9], v[65:66], v[24:25]
	v_fma_f64 v[65:66], v[10:11], v[65:66], -v[26:27]
	global_load_dwordx4 v[8:11], v121, s[8:9] offset:3392
	v_lshrrev_b16_e32 v24, 3, v50
	v_mul_u32_u24_e32 v24, 0x12f7, v24
	v_lshrrev_b32_e32 v24, 17, v24
	v_fma_f64 v[71:72], v[12:13], v[69:70], v[32:33]
	v_fma_f64 v[69:70], v[14:15], v[69:70], -v[34:35]
	ds_read_b128 v[12:15], v55 offset:23040
	v_mul_lo_u16_e32 v24, 0xd8, v24
	v_sub_u16_e32 v125, v50, v24
	v_mul_u32_u24_e32 v24, 3, v125
	v_lshlrev_b32_e32 v40, 4, v24
	global_load_dwordx4 v[24:27], v40, s[8:9] offset:3360
	s_waitcnt vmcnt(3) lgkmcnt(0)
	v_mul_f64 v[36:37], v[14:15], v[83:84]
	v_mul_f64 v[38:39], v[12:13], v[83:84]
	ds_read_b128 v[32:35], v55 offset:25344
	v_add_f64 v[71:72], v[119:120], -v[71:72]
	v_add_f64 v[69:70], v[61:62], -v[69:70]
	v_fma_f64 v[83:84], v[12:13], v[81:82], v[36:37]
	v_fma_f64 v[81:82], v[14:15], v[81:82], -v[38:39]
	global_load_dwordx4 v[12:15], v40, s[8:9] offset:3376
	s_waitcnt vmcnt(3)
	v_mul_f64 v[36:37], v[18:19], v[95:96]
	v_mul_f64 v[38:39], v[16:17], v[95:96]
	v_fma_f64 v[95:96], v[16:17], v[93:94], v[36:37]
	v_fma_f64 v[93:94], v[18:19], v[93:94], -v[38:39]
	global_load_dwordx4 v[16:19], v40, s[8:9] offset:3392
	s_waitcnt vmcnt(3)
	v_mul_f64 v[36:37], v[22:23], v[10:11]
	v_mul_f64 v[10:11], v[20:21], v[10:11]
	v_fma_f64 v[121:122], v[20:21], v[8:9], v[36:37]
	v_fma_f64 v[123:124], v[22:23], v[8:9], -v[10:11]
	ds_read_b128 v[8:11], v55
	s_waitcnt vmcnt(2) lgkmcnt(1)
	v_mul_f64 v[20:21], v[34:35], v[26:27]
	v_mul_f64 v[22:23], v[32:33], v[26:27]
	s_waitcnt lgkmcnt(0)
	v_add_f64 v[40:41], v[8:9], -v[85:86]
	v_add_f64 v[42:43], v[10:11], -v[87:88]
	;; [unrolled: 1-line block ×4, first 2 shown]
	v_fma_f64 v[85:86], v[32:33], v[24:25], v[20:21]
	v_fma_f64 v[103:104], v[34:35], v[24:25], -v[22:23]
	s_waitcnt vmcnt(1)
	v_mul_f64 v[20:21], v[91:92], v[14:15]
	v_mul_f64 v[14:15], v[89:90], v[14:15]
	v_fma_f64 v[22:23], v[8:9], 2.0, -v[40:41]
	v_fma_f64 v[24:25], v[10:11], 2.0, -v[42:43]
	;; [unrolled: 1-line block ×4, first 2 shown]
	ds_read_b128 v[8:11], v55 offset:52992
	v_fma_f64 v[89:90], v[89:90], v[12:13], v[20:21]
	v_fma_f64 v[91:92], v[91:92], v[12:13], -v[14:15]
	v_add_f64 v[12:13], v[22:23], -v[26:27]
	s_waitcnt vmcnt(0) lgkmcnt(0)
	v_mul_f64 v[20:21], v[10:11], v[18:19]
	v_mul_f64 v[18:19], v[8:9], v[18:19]
	v_add_f64 v[14:15], v[24:25], -v[32:33]
	v_fma_f64 v[8:9], v[8:9], v[16:17], v[20:21]
	v_fma_f64 v[97:98], v[10:11], v[16:17], -v[18:19]
	v_fma_f64 v[16:17], v[22:23], 2.0, -v[12:13]
	v_fma_f64 v[18:19], v[24:25], 2.0, -v[14:15]
	v_lshl_add_u32 v10, v50, 4, 0
	ds_read_b128 v[20:23], v60
	ds_read_b128 v[24:27], v54
	;; [unrolled: 1-line block ×4, first 2 shown]
	s_waitcnt lgkmcnt(0)
	s_barrier
	v_add_f64 v[73:74], v[32:33], -v[73:74]
	v_add_f64 v[75:76], v[34:35], -v[75:76]
	ds_write_b128 v55, v[16:19]
	v_add_f64 v[16:17], v[40:41], v[101:102]
	v_add_f64 v[18:19], v[42:43], -v[87:88]
	v_add_f64 v[101:102], v[77:78], -v[105:106]
	;; [unrolled: 1-line block ×4, first 2 shown]
	v_fma_f64 v[87:88], v[32:33], 2.0, -v[73:74]
	v_fma_f64 v[99:100], v[34:35], 2.0, -v[75:76]
	v_add_f64 v[65:66], v[26:27], -v[65:66]
	v_fma_f64 v[40:41], v[40:41], 2.0, -v[16:17]
	v_fma_f64 v[42:43], v[42:43], 2.0, -v[18:19]
	;; [unrolled: 1-line block ×4, first 2 shown]
	ds_write_b128 v55, v[40:43] offset:3456
	ds_write_b128 v55, v[12:15] offset:6912
	;; [unrolled: 1-line block ×3, first 2 shown]
	v_add_f64 v[32:33], v[87:88], -v[32:33]
	v_add_f64 v[34:35], v[99:100], -v[34:35]
	v_add_f64 v[15:16], v[73:74], v[105:106]
	v_add_f64 v[17:18], v[75:76], -v[101:102]
	v_mov_b32_e32 v19, 0x3600
	v_cndmask_b32_e32 v19, 0, v19, vcc
	v_add3_u32 v4, 0, v19, v4
	v_fma_f64 v[11:12], v[87:88], 2.0, -v[32:33]
	v_fma_f64 v[13:14], v[99:100], 2.0, -v[34:35]
	;; [unrolled: 1-line block ×8, first 2 shown]
	ds_write_b128 v4, v[11:14]
	ds_write_b128 v4, v[40:43] offset:3456
	ds_write_b128 v4, v[32:35] offset:6912
	v_add_f64 v[61:62], v[20:21], -v[63:64]
	v_add_f64 v[63:64], v[22:23], -v[113:114]
	ds_write_b128 v4, v[15:18] offset:10368
	v_add_f64 v[11:12], v[73:74], -v[24:25]
	v_add_f64 v[13:14], v[75:76], -v[26:27]
	v_add_f64 v[24:25], v[67:68], v[69:70]
	v_add_f64 v[26:27], v[65:66], -v[71:72]
	v_add_f64 v[69:70], v[109:110], -v[115:116]
	v_add_f64 v[71:72], v[111:112], -v[117:118]
	v_fma_f64 v[19:20], v[20:21], 2.0, -v[61:62]
	v_fma_f64 v[21:22], v[22:23], 2.0, -v[63:64]
	;; [unrolled: 1-line block ×8, first 2 shown]
	v_lshl_add_u32 v4, v7, 4, 0
	ds_write_b128 v4, v[32:35] offset:27648
	ds_write_b128 v4, v[40:43] offset:31104
	ds_write_b128 v4, v[11:14] offset:34560
	ds_write_b128 v4, v[24:27] offset:38016
	v_add_f64 v[15:16], v[61:62], v[71:72]
	v_add_f64 v[11:12], v[19:20], -v[65:66]
	v_add_f64 v[13:14], v[21:22], -v[67:68]
	;; [unrolled: 1-line block ×8, first 2 shown]
	v_fma_f64 v[19:20], v[19:20], 2.0, -v[11:12]
	v_fma_f64 v[21:22], v[21:22], 2.0, -v[13:14]
	v_add_f64 v[67:68], v[38:39], -v[91:92]
	v_add_f64 v[7:8], v[85:86], -v[8:9]
	;; [unrolled: 1-line block ×3, first 2 shown]
	v_fma_f64 v[23:24], v[61:62], 2.0, -v[15:16]
	v_fma_f64 v[25:26], v[63:64], 2.0, -v[17:18]
	;; [unrolled: 1-line block ×6, first 2 shown]
	ds_write_b128 v55, v[19:22] offset:14976
	ds_write_b128 v55, v[23:26] offset:18432
	v_fma_f64 v[36:37], v[36:37], 2.0, -v[65:66]
	v_fma_f64 v[38:39], v[38:39], 2.0, -v[67:68]
	;; [unrolled: 1-line block ×4, first 2 shown]
	v_add_f64 v[19:20], v[27:28], -v[61:62]
	v_add_f64 v[21:22], v[29:30], -v[63:64]
	ds_write_b128 v55, v[11:14] offset:21888
	ds_write_b128 v55, v[15:18] offset:25344
	v_add_f64 v[15:16], v[32:33], v[42:43]
	v_add_f64 v[17:18], v[34:35], -v[40:41]
	v_mul_u32_u24_e32 v4, 0x3600, v6
	v_add_f64 v[23:24], v[36:37], -v[23:24]
	v_add_f64 v[25:26], v[38:39], -v[25:26]
	v_fma_f64 v[11:12], v[27:28], 2.0, -v[19:20]
	v_fma_f64 v[13:14], v[29:30], 2.0, -v[21:22]
	v_add_f64 v[27:28], v[65:66], v[69:70]
	v_add_f64 v[29:30], v[67:68], -v[7:8]
	v_fma_f64 v[6:7], v[32:33], 2.0, -v[15:16]
	v_fma_f64 v[8:9], v[34:35], 2.0, -v[17:18]
	;; [unrolled: 1-line block ×4, first 2 shown]
	v_add3_u32 v4, 0, v4, v5
	ds_write_b128 v4, v[11:14]
	ds_write_b128 v4, v[6:9] offset:3456
	ds_write_b128 v4, v[19:22] offset:6912
	;; [unrolled: 1-line block ×3, first 2 shown]
	v_fma_f64 v[35:36], v[65:66], 2.0, -v[27:28]
	v_fma_f64 v[37:38], v[67:68], 2.0, -v[29:30]
	v_lshl_add_u32 v4, v125, 4, 0
	ds_write_b128 v4, v[31:34] offset:41472
	ds_write_b128 v4, v[35:38] offset:44928
	;; [unrolled: 1-line block ×4, first 2 shown]
	v_add_co_u32_e32 v4, vcc, s5, v0
	v_addc_co_u32_e32 v5, vcc, 0, v3, vcc
	s_waitcnt lgkmcnt(0)
	s_barrier
	global_load_dwordx4 v[4:7], v[4:5], off offset:1440
	v_add_co_u32_e32 v8, vcc, s4, v0
	v_addc_co_u32_e32 v9, vcc, 0, v3, vcc
	global_load_dwordx4 v[11:14], v[8:9], off offset:16
	global_load_dwordx4 v[15:18], v[8:9], off offset:32
	v_mul_i32_i24_e32 v0, 3, v46
	v_lshlrev_b64 v[8:9], 4, v[0:1]
	v_add_co_u32_e32 v0, vcc, s8, v8
	v_addc_co_u32_e32 v3, vcc, v2, v9, vcc
	v_add_co_u32_e32 v8, vcc, s5, v0
	v_addc_co_u32_e32 v9, vcc, 0, v3, vcc
	global_load_dwordx4 v[19:22], v[8:9], off offset:1440
	v_add_co_u32_e32 v8, vcc, s4, v0
	v_addc_co_u32_e32 v9, vcc, 0, v3, vcc
	global_load_dwordx4 v[23:26], v[8:9], off offset:16
	global_load_dwordx4 v[27:30], v[8:9], off offset:32
	v_mul_i32_i24_e32 v0, 3, v53
	v_lshlrev_b64 v[8:9], 4, v[0:1]
	ds_read_b128 v[35:38], v55 offset:13824
	ds_read_b128 v[39:42], v55 offset:16128
	v_add_co_u32_e32 v0, vcc, s8, v8
	v_addc_co_u32_e32 v3, vcc, v2, v9, vcc
	v_add_co_u32_e32 v8, vcc, s5, v0
	v_addc_co_u32_e32 v9, vcc, 0, v3, vcc
	global_load_dwordx4 v[31:34], v[8:9], off offset:1440
	v_add_co_u32_e32 v8, vcc, s4, v0
	v_addc_co_u32_e32 v9, vcc, 0, v3, vcc
	ds_read_b128 v[61:64], v55 offset:27648
	global_load_dwordx4 v[65:68], v[8:9], off offset:16
	global_load_dwordx4 v[69:72], v[8:9], off offset:32
	v_mul_i32_i24_e32 v0, 3, v52
	v_lshlrev_b64 v[81:82], 4, v[0:1]
	v_add_co_u32_e32 v0, vcc, s8, v81
	v_addc_co_u32_e32 v3, vcc, v2, v82, vcc
	v_add_co_u32_e32 v81, vcc, s5, v0
	v_addc_co_u32_e32 v82, vcc, 0, v3, vcc
	;; [unrolled: 2-line block ×3, first 2 shown]
	v_mul_i32_i24_e32 v0, 3, v51
	s_waitcnt vmcnt(8) lgkmcnt(2)
	v_mul_f64 v[89:90], v[37:38], v[6:7]
	v_mul_f64 v[91:92], v[35:36], v[6:7]
	ds_read_b128 v[6:9], v55 offset:41472
	ds_read_b128 v[73:76], v55 offset:29952
	global_load_dwordx4 v[81:84], v[81:82], off offset:1440
	s_waitcnt vmcnt(8) lgkmcnt(2)
	v_mul_f64 v[93:94], v[63:64], v[13:14]
	global_load_dwordx4 v[85:88], v[99:100], off offset:16
	s_waitcnt vmcnt(8) lgkmcnt(1)
	v_mul_f64 v[95:96], v[8:9], v[17:18]
	v_mul_f64 v[13:14], v[61:62], v[13:14]
	;; [unrolled: 1-line block ×3, first 2 shown]
	v_fma_f64 v[101:102], v[35:36], v[4:5], v[89:90]
	v_fma_f64 v[103:104], v[37:38], v[4:5], -v[91:92]
	ds_read_b128 v[77:80], v55 offset:39168
	v_fma_f64 v[105:106], v[61:62], v[11:12], v[93:94]
	v_fma_f64 v[109:110], v[6:7], v[15:16], v[95:96]
	global_load_dwordx4 v[3:6], v[99:100], off offset:32
	v_fma_f64 v[107:108], v[63:64], v[11:12], -v[13:14]
	v_lshlrev_b64 v[11:12], 4, v[0:1]
	v_fma_f64 v[111:112], v[8:9], v[15:16], -v[17:18]
	ds_read_b128 v[15:18], v55 offset:43776
	v_add_co_u32_e32 v0, vcc, s8, v11
	s_waitcnt vmcnt(8)
	v_mul_f64 v[7:8], v[39:40], v[21:22]
	v_addc_co_u32_e32 v9, vcc, v2, v12, vcc
	v_add_co_u32_e32 v11, vcc, s5, v0
	v_mul_f64 v[97:98], v[41:42], v[21:22]
	s_waitcnt vmcnt(7) lgkmcnt(2)
	v_mul_f64 v[21:22], v[75:76], v[25:26]
	v_mul_f64 v[25:26], v[73:74], v[25:26]
	v_addc_co_u32_e32 v12, vcc, 0, v9, vcc
	global_load_dwordx4 v[11:14], v[11:12], off offset:1440
	v_fma_f64 v[99:100], v[41:42], v[19:20], -v[7:8]
	v_add_co_u32_e32 v7, vcc, s4, v0
	v_addc_co_u32_e32 v8, vcc, 0, v9, vcc
	v_mul_i32_i24_e32 v0, 3, v50
	v_fma_f64 v[97:98], v[39:40], v[19:20], v[97:98]
	v_fma_f64 v[113:114], v[73:74], v[23:24], v[21:22]
	v_fma_f64 v[115:116], v[75:76], v[23:24], -v[25:26]
	global_load_dwordx4 v[19:22], v[7:8], off offset:16
	global_load_dwordx4 v[23:26], v[7:8], off offset:32
	v_lshlrev_b64 v[7:8], 4, v[0:1]
	v_add_co_u32_e32 v0, vcc, s8, v7
	v_addc_co_u32_e32 v2, vcc, v2, v8, vcc
	v_add_co_u32_e32 v7, vcc, s5, v0
	v_addc_co_u32_e32 v8, vcc, 0, v2, vcc
	global_load_dwordx4 v[35:38], v[7:8], off offset:1440
	v_add_co_u32_e32 v93, vcc, s4, v0
	v_addc_co_u32_e32 v94, vcc, 0, v2, vcc
	ds_read_b128 v[39:42], v55 offset:18432
	ds_read_b128 v[61:64], v55 offset:46080
	global_load_dwordx4 v[89:92], v[93:94], off offset:16
	s_waitcnt vmcnt(11) lgkmcnt(2)
	v_mul_f64 v[7:8], v[17:18], v[29:30]
	global_load_dwordx4 v[93:96], v[93:94], off offset:32
	v_mul_f64 v[29:30], v[15:16], v[29:30]
	s_waitcnt vmcnt(11) lgkmcnt(1)
	v_mul_f64 v[117:118], v[41:42], v[33:34]
	v_mul_f64 v[33:34], v[39:40], v[33:34]
	ds_read_b128 v[73:76], v55 offset:20736
	v_cmp_ne_u32_e32 vcc, 0, v44
	v_fma_f64 v[119:120], v[15:16], v[27:28], v[7:8]
	v_fma_f64 v[121:122], v[17:18], v[27:28], -v[29:30]
	ds_read_b128 v[15:18], v55 offset:32256
	v_fma_f64 v[117:118], v[39:40], v[31:32], v[117:118]
	v_fma_f64 v[123:124], v[41:42], v[31:32], -v[33:34]
	s_waitcnt vmcnt(9) lgkmcnt(2)
	v_mul_f64 v[33:34], v[63:64], v[71:72]
	v_mul_f64 v[39:40], v[61:62], v[71:72]
	s_waitcnt lgkmcnt(0)
	v_mul_f64 v[7:8], v[17:18], v[67:68]
	v_mul_f64 v[31:32], v[15:16], v[67:68]
	ds_read_b128 v[27:30], v59
	v_fma_f64 v[61:62], v[61:62], v[69:70], v[33:34]
	s_waitcnt vmcnt(8)
	v_mul_f64 v[41:42], v[73:74], v[83:84]
	v_fma_f64 v[67:68], v[15:16], v[65:66], v[7:8]
	v_fma_f64 v[65:66], v[17:18], v[65:66], -v[31:32]
	ds_read_b128 v[15:18], v55 offset:34560
	ds_read_b128 v[31:34], v55 offset:36864
	v_mul_f64 v[7:8], v[75:76], v[83:84]
	v_fma_f64 v[63:64], v[63:64], v[69:70], -v[39:40]
	v_add_f64 v[61:62], v[117:118], -v[61:62]
	s_waitcnt vmcnt(7) lgkmcnt(1)
	v_mul_f64 v[69:70], v[17:18], v[87:88]
	v_mul_f64 v[71:72], v[15:16], v[87:88]
	v_fma_f64 v[75:76], v[75:76], v[81:82], -v[41:42]
	ds_read_b128 v[39:42], v55 offset:48384
	v_fma_f64 v[73:74], v[73:74], v[81:82], v[7:8]
	v_add_f64 v[63:64], v[123:124], -v[63:64]
	v_fma_f64 v[69:70], v[15:16], v[85:86], v[69:70]
	v_fma_f64 v[71:72], v[17:18], v[85:86], -v[71:72]
	ds_read_b128 v[15:18], v55 offset:50688
	s_waitcnt vmcnt(6) lgkmcnt(1)
	v_mul_f64 v[81:82], v[41:42], v[5:6]
	v_mul_f64 v[83:84], v[39:40], v[5:6]
	ds_read_b128 v[5:8], v55 offset:23040
	v_fma_f64 v[81:82], v[39:40], v[3:4], v[81:82]
	v_fma_f64 v[83:84], v[41:42], v[3:4], -v[83:84]
	ds_read_b128 v[39:42], v55 offset:25344
	s_waitcnt vmcnt(5) lgkmcnt(1)
	v_mul_f64 v[2:3], v[7:8], v[13:14]
	v_mul_f64 v[13:14], v[5:6], v[13:14]
	v_fma_f64 v[85:86], v[5:6], v[11:12], v[2:3]
	v_fma_f64 v[87:88], v[7:8], v[11:12], -v[13:14]
	s_waitcnt vmcnt(4)
	v_mul_f64 v[2:3], v[33:34], v[21:22]
	v_mul_f64 v[4:5], v[31:32], v[21:22]
	s_waitcnt vmcnt(3)
	v_mul_f64 v[6:7], v[17:18], v[25:26]
	v_mul_f64 v[8:9], v[15:16], v[25:26]
	v_add_f64 v[21:22], v[103:104], -v[111:112]
	v_fma_f64 v[125:126], v[31:32], v[19:20], v[2:3]
	v_fma_f64 v[127:128], v[33:34], v[19:20], -v[4:5]
	s_waitcnt vmcnt(2) lgkmcnt(0)
	v_mul_f64 v[11:12], v[41:42], v[37:38]
	v_mul_f64 v[13:14], v[39:40], v[37:38]
	v_fma_f64 v[129:130], v[15:16], v[23:24], v[6:7]
	ds_read_b128 v[2:5], v55
	v_fma_f64 v[131:132], v[17:18], v[23:24], -v[8:9]
	ds_read_b128 v[6:9], v55 offset:52992
	v_add_f64 v[17:18], v[101:102], -v[109:110]
	v_fma_f64 v[133:134], v[39:40], v[35:36], v[11:12]
	v_fma_f64 v[135:136], v[41:42], v[35:36], -v[13:14]
	s_waitcnt lgkmcnt(1)
	v_add_f64 v[23:24], v[2:3], -v[105:106]
	s_waitcnt vmcnt(1)
	v_mul_f64 v[11:12], v[79:80], v[91:92]
	v_mul_f64 v[13:14], v[77:78], v[91:92]
	s_waitcnt vmcnt(0) lgkmcnt(0)
	v_mul_f64 v[15:16], v[8:9], v[95:96]
	v_add_f64 v[25:26], v[4:5], -v[107:108]
	v_mul_f64 v[19:20], v[6:7], v[95:96]
	v_fma_f64 v[33:34], v[101:102], 2.0, -v[17:18]
	v_add_f64 v[95:96], v[99:100], -v[121:122]
	v_fma_f64 v[31:32], v[2:3], 2.0, -v[23:24]
	v_fma_f64 v[77:78], v[77:78], v[89:90], v[11:12]
	v_fma_f64 v[79:80], v[79:80], v[89:90], -v[13:14]
	v_fma_f64 v[89:90], v[6:7], v[93:94], v[15:16]
	v_fma_f64 v[35:36], v[4:5], 2.0, -v[25:26]
	v_fma_f64 v[15:16], v[103:104], 2.0, -v[21:22]
	ds_read_b128 v[2:5], v47
	ds_read_b128 v[11:14], v10
	v_fma_f64 v[91:92], v[8:9], v[93:94], -v[19:20]
	v_add_f64 v[93:94], v[97:98], -v[119:120]
	v_add_f64 v[6:7], v[31:32], -v[33:34]
	s_waitcnt lgkmcnt(1)
	v_add_f64 v[39:40], v[2:3], -v[113:114]
	v_add_f64 v[41:42], v[4:5], -v[115:116]
	;; [unrolled: 1-line block ×3, first 2 shown]
	v_add_f64 v[15:16], v[23:24], v[21:22]
	v_add_f64 v[17:18], v[25:26], -v[17:18]
	v_fma_f64 v[37:38], v[97:98], 2.0, -v[93:94]
	v_fma_f64 v[97:98], v[99:100], 2.0, -v[95:96]
	;; [unrolled: 1-line block ×8, first 2 shown]
	ds_read_b128 v[23:26], v60
	ds_read_b128 v[31:34], v54
	s_waitcnt lgkmcnt(0)
	v_add_f64 v[35:36], v[101:102], -v[37:38]
	v_add_f64 v[37:38], v[103:104], -v[97:98]
	s_barrier
	ds_write_b128 v55, v[19:22]
	ds_write_b128 v55, v[2:5] offset:13824
	v_add_f64 v[2:3], v[39:40], v[95:96]
	v_add_f64 v[4:5], v[41:42], -v[93:94]
	v_add_f64 v[67:68], v[23:24], -v[67:68]
	;; [unrolled: 1-line block ×3, first 2 shown]
	v_fma_f64 v[19:20], v[101:102], 2.0, -v[35:36]
	v_fma_f64 v[21:22], v[103:104], 2.0, -v[37:38]
	ds_write_b128 v55, v[6:9] offset:27648
	ds_write_b128 v55, v[15:18] offset:41472
	v_fma_f64 v[6:7], v[117:118], 2.0, -v[61:62]
	v_fma_f64 v[39:40], v[39:40], 2.0, -v[2:3]
	v_fma_f64 v[41:42], v[41:42], 2.0, -v[4:5]
	v_fma_f64 v[23:24], v[23:24], 2.0, -v[67:68]
	v_fma_f64 v[25:26], v[25:26], 2.0, -v[65:66]
	v_fma_f64 v[8:9], v[123:124], 2.0, -v[63:64]
	ds_write_b128 v47, v[19:22]
	ds_write_b128 v47, v[39:42] offset:13824
	v_add_f64 v[39:40], v[31:32], -v[69:70]
	v_add_f64 v[41:42], v[33:34], -v[71:72]
	;; [unrolled: 1-line block ×6, first 2 shown]
	v_add_f64 v[15:16], v[67:68], v[63:64]
	v_add_f64 v[17:18], v[65:66], -v[61:62]
	v_fma_f64 v[61:62], v[31:32], 2.0, -v[39:40]
	v_fma_f64 v[63:64], v[33:34], 2.0, -v[41:42]
	;; [unrolled: 1-line block ×8, first 2 shown]
	ds_write_b128 v47, v[35:38] offset:27648
	ds_write_b128 v47, v[2:5] offset:41472
	ds_write_b128 v60, v[19:22]
	ds_write_b128 v60, v[23:26] offset:13824
	ds_write_b128 v60, v[6:9] offset:27648
	;; [unrolled: 1-line block ×3, first 2 shown]
	v_add_f64 v[2:3], v[61:62], -v[31:32]
	v_add_f64 v[4:5], v[63:64], -v[33:34]
	v_add_f64 v[31:32], v[39:40], v[71:72]
	v_add_f64 v[33:34], v[41:42], -v[69:70]
	v_add_f64 v[35:36], v[27:28], -v[125:126]
	v_add_f64 v[37:38], v[29:30], -v[127:128]
	v_add_f64 v[19:20], v[85:86], -v[129:130]
	v_add_f64 v[21:22], v[87:88], -v[131:132]
	v_add_f64 v[23:24], v[133:134], -v[89:90]
	v_add_f64 v[25:26], v[135:136], -v[91:92]
	v_fma_f64 v[15:16], v[39:40], 2.0, -v[31:32]
	v_fma_f64 v[17:18], v[41:42], 2.0, -v[33:34]
	v_add_f64 v[39:40], v[11:12], -v[77:78]
	v_add_f64 v[41:42], v[13:14], -v[79:80]
	v_fma_f64 v[6:7], v[61:62], 2.0, -v[2:3]
	v_fma_f64 v[8:9], v[63:64], 2.0, -v[4:5]
	;; [unrolled: 1-line block ×10, first 2 shown]
	ds_write_b128 v54, v[6:9]
	ds_write_b128 v54, v[15:18] offset:13824
	v_add_f64 v[11:12], v[35:36], v[21:22]
	v_add_f64 v[6:7], v[27:28], -v[60:61]
	v_add_f64 v[8:9], v[29:30], -v[62:63]
	;; [unrolled: 1-line block ×3, first 2 shown]
	v_add_f64 v[19:20], v[39:40], v[25:26]
	v_add_f64 v[15:16], v[64:65], -v[68:69]
	v_add_f64 v[17:18], v[66:67], -v[70:71]
	;; [unrolled: 1-line block ×3, first 2 shown]
	v_fma_f64 v[23:24], v[27:28], 2.0, -v[6:7]
	v_fma_f64 v[25:26], v[29:30], 2.0, -v[8:9]
	v_fma_f64 v[27:28], v[35:36], 2.0, -v[11:12]
	v_fma_f64 v[29:30], v[37:38], 2.0, -v[13:14]
	v_fma_f64 v[35:36], v[64:65], 2.0, -v[15:16]
	v_fma_f64 v[37:38], v[66:67], 2.0, -v[17:18]
	v_fma_f64 v[39:40], v[39:40], 2.0, -v[19:20]
	v_fma_f64 v[41:42], v[41:42], 2.0, -v[21:22]
	ds_write_b128 v54, v[2:5] offset:27648
	ds_write_b128 v54, v[31:34] offset:41472
	ds_write_b128 v59, v[23:26]
	ds_write_b128 v59, v[27:30] offset:13824
	ds_write_b128 v59, v[6:9] offset:27648
	;; [unrolled: 1-line block ×3, first 2 shown]
	ds_write_b128 v10, v[35:38]
	ds_write_b128 v10, v[39:42] offset:13824
	ds_write_b128 v10, v[15:18] offset:27648
	;; [unrolled: 1-line block ×3, first 2 shown]
	s_waitcnt lgkmcnt(0)
	s_barrier
	ds_read_b128 v[4:7], v55
	v_sub_u32_e32 v11, 0, v45
                                        ; implicit-def: $vgpr8_vgpr9
                                        ; implicit-def: $vgpr2_vgpr3
	s_and_saveexec_b64 s[4:5], vcc
	s_xor_b64 s[4:5], exec, s[4:5]
	s_cbranch_execz .LBB0_15
; %bb.14:
	v_mov_b32_e32 v45, v1
	v_lshlrev_b64 v[0:1], 4, v[44:45]
	v_mov_b32_e32 v2, s7
	v_add_co_u32_e32 v0, vcc, s6, v0
	v_addc_co_u32_e32 v1, vcc, v2, v1, vcc
	global_load_dwordx4 v[12:15], v[0:1], off
	ds_read_b128 v[0:3], v11 offset:55296
	s_waitcnt lgkmcnt(0)
	v_add_f64 v[8:9], v[4:5], -v[0:1]
	v_add_f64 v[16:17], v[6:7], v[2:3]
	v_add_f64 v[2:3], v[6:7], -v[2:3]
	v_add_f64 v[0:1], v[4:5], v[0:1]
	v_mul_f64 v[6:7], v[8:9], 0.5
	v_mul_f64 v[4:5], v[16:17], 0.5
	;; [unrolled: 1-line block ×3, first 2 shown]
	s_waitcnt vmcnt(0)
	v_mul_f64 v[8:9], v[6:7], v[14:15]
	v_fma_f64 v[16:17], v[4:5], v[14:15], v[2:3]
	v_fma_f64 v[2:3], v[4:5], v[14:15], -v[2:3]
	v_fma_f64 v[18:19], v[0:1], 0.5, v[8:9]
	v_fma_f64 v[0:1], v[0:1], 0.5, -v[8:9]
	v_fma_f64 v[8:9], -v[12:13], v[6:7], v[16:17]
	v_fma_f64 v[2:3], -v[12:13], v[6:7], v[2:3]
	v_fma_f64 v[14:15], v[4:5], v[12:13], v[18:19]
	v_fma_f64 v[0:1], -v[4:5], v[12:13], v[0:1]
                                        ; implicit-def: $vgpr4_vgpr5
	ds_write_b64 v55, v[14:15]
.LBB0_15:
	s_or_saveexec_b64 s[4:5], s[4:5]
	v_mul_i32_i24_e32 v14, 0xffffffb0, v46
	v_mul_i32_i24_e32 v13, 0xffffffb0, v53
	;; [unrolled: 1-line block ×3, first 2 shown]
	s_xor_b64 exec, exec, s[4:5]
	s_cbranch_execz .LBB0_17
; %bb.16:
	s_waitcnt lgkmcnt(0)
	v_add_f64 v[2:3], v[4:5], v[6:7]
	v_mov_b32_e32 v17, 0
	ds_read_b64 v[15:16], v17 offset:27656
	v_add_f64 v[0:1], v[4:5], -v[6:7]
	v_mov_b32_e32 v8, 0
	v_mov_b32_e32 v9, 0
	s_waitcnt lgkmcnt(0)
	v_xor_b32_e32 v16, 0x80000000, v16
	ds_write_b64 v17, v[15:16] offset:27656
	ds_write_b64 v55, v[2:3]
	v_mov_b32_e32 v2, v8
	v_mov_b32_e32 v3, v9
.LBB0_17:
	s_or_b64 exec, exec, s[4:5]
	v_mov_b32_e32 v47, 0
	s_waitcnt lgkmcnt(0)
	v_lshlrev_b64 v[4:5], 4, v[46:47]
	v_mov_b32_e32 v6, s7
	v_add_co_u32_e32 v4, vcc, s6, v4
	v_addc_co_u32_e32 v5, vcc, v6, v5, vcc
	global_load_dwordx4 v[4:7], v[4:5], off
	v_mov_b32_e32 v54, v47
	v_lshlrev_b64 v[15:16], 4, v[53:54]
	v_mov_b32_e32 v17, s7
	v_add_co_u32_e32 v15, vcc, s6, v15
	v_addc_co_u32_e32 v16, vcc, v17, v16, vcc
	global_load_dwordx4 v[15:18], v[15:16], off
	ds_write_b64 v55, v[8:9] offset:8
	ds_write_b128 v11, v[0:3] offset:55296
	v_add_u32_e32 v14, v58, v14
	ds_read_b128 v[0:3], v14
	ds_read_b128 v[19:22], v11 offset:52992
	v_mov_b32_e32 v53, v47
	v_mov_b32_e32 v31, s7
	v_add_u32_e32 v46, 0x360, v44
	s_waitcnt lgkmcnt(0)
	v_add_f64 v[8:9], v[0:1], -v[19:20]
	v_add_f64 v[23:24], v[2:3], v[21:22]
	v_add_f64 v[2:3], v[2:3], -v[21:22]
	v_add_f64 v[0:1], v[0:1], v[19:20]
	v_lshlrev_b64 v[19:20], 4, v[52:53]
	v_mov_b32_e32 v52, v47
	v_mul_f64 v[21:22], v[8:9], 0.5
	v_mul_f64 v[23:24], v[23:24], 0.5
	;; [unrolled: 1-line block ×3, first 2 shown]
	s_waitcnt vmcnt(1)
	v_mul_f64 v[8:9], v[21:22], v[6:7]
	v_fma_f64 v[25:26], v[23:24], v[6:7], v[2:3]
	v_fma_f64 v[6:7], v[23:24], v[6:7], -v[2:3]
	v_fma_f64 v[27:28], v[0:1], 0.5, v[8:9]
	v_fma_f64 v[29:30], v[0:1], 0.5, -v[8:9]
	v_add_co_u32_e32 v0, vcc, s6, v19
	v_addc_co_u32_e32 v1, vcc, v31, v20, vcc
	global_load_dwordx4 v[0:3], v[0:1], off
	v_fma_f64 v[8:9], -v[4:5], v[21:22], v[25:26]
	v_fma_f64 v[21:22], -v[4:5], v[21:22], v[6:7]
	v_fma_f64 v[6:7], v[23:24], v[4:5], v[27:28]
	v_fma_f64 v[19:20], -v[23:24], v[4:5], v[29:30]
	v_add_u32_e32 v29, v57, v13
	v_mov_b32_e32 v30, s7
	ds_write_b128 v14, v[6:9]
	ds_write_b128 v11, v[19:22] offset:52992
	ds_read_b128 v[4:7], v29
	ds_read_b128 v[19:22], v11 offset:50688
	s_waitcnt lgkmcnt(0)
	v_add_f64 v[8:9], v[4:5], -v[19:20]
	v_add_f64 v[13:14], v[6:7], v[21:22]
	v_add_f64 v[6:7], v[6:7], -v[21:22]
	v_add_f64 v[4:5], v[4:5], v[19:20]
	v_lshlrev_b64 v[21:22], 4, v[51:52]
	v_mov_b32_e32 v51, v47
	v_mul_f64 v[8:9], v[8:9], 0.5
	v_mul_f64 v[13:14], v[13:14], 0.5
	;; [unrolled: 1-line block ×3, first 2 shown]
	s_waitcnt vmcnt(1)
	v_mul_f64 v[19:20], v[8:9], v[17:18]
	v_fma_f64 v[23:24], v[13:14], v[17:18], v[6:7]
	v_fma_f64 v[17:18], v[13:14], v[17:18], -v[6:7]
	v_fma_f64 v[25:26], v[4:5], 0.5, v[19:20]
	v_fma_f64 v[27:28], v[4:5], 0.5, -v[19:20]
	v_add_co_u32_e32 v4, vcc, s6, v21
	v_addc_co_u32_e32 v5, vcc, v30, v22, vcc
	global_load_dwordx4 v[4:7], v[4:5], off
	v_fma_f64 v[19:20], -v[15:16], v[8:9], v[23:24]
	v_fma_f64 v[23:24], -v[15:16], v[8:9], v[17:18]
	v_fma_f64 v[17:18], v[13:14], v[15:16], v[25:26]
	v_fma_f64 v[21:22], -v[13:14], v[15:16], v[27:28]
	v_add_u32_e32 v28, v56, v12
	ds_write_b128 v29, v[17:20]
	ds_write_b128 v11, v[21:24] offset:50688
	ds_read_b128 v[12:15], v28
	ds_read_b128 v[16:19], v11 offset:48384
	v_mov_b32_e32 v29, s7
	s_waitcnt lgkmcnt(0)
	v_add_f64 v[8:9], v[12:13], -v[16:17]
	v_add_f64 v[20:21], v[14:15], v[18:19]
	v_add_f64 v[14:15], v[14:15], -v[18:19]
	v_add_f64 v[12:13], v[12:13], v[16:17]
	v_lshlrev_b64 v[18:19], 4, v[50:51]
	v_mul_f64 v[8:9], v[8:9], 0.5
	v_mul_f64 v[20:21], v[20:21], 0.5
	;; [unrolled: 1-line block ×3, first 2 shown]
	s_waitcnt vmcnt(1)
	v_mul_f64 v[16:17], v[8:9], v[2:3]
	v_fma_f64 v[22:23], v[20:21], v[2:3], v[14:15]
	v_fma_f64 v[2:3], v[20:21], v[2:3], -v[14:15]
	v_fma_f64 v[24:25], v[12:13], 0.5, v[16:17]
	v_fma_f64 v[26:27], v[12:13], 0.5, -v[16:17]
	v_add_co_u32_e32 v12, vcc, s6, v18
	v_addc_co_u32_e32 v13, vcc, v29, v19, vcc
	global_load_dwordx4 v[12:15], v[12:13], off
	v_fma_f64 v[18:19], -v[0:1], v[8:9], v[22:23]
	v_fma_f64 v[16:17], v[20:21], v[0:1], v[24:25]
	v_fma_f64 v[2:3], -v[0:1], v[8:9], v[2:3]
	v_fma_f64 v[0:1], -v[20:21], v[0:1], v[26:27]
	ds_write_b128 v28, v[16:19]
	ds_write_b128 v11, v[0:3] offset:48384
	ds_read_b128 v[0:3], v59
	ds_read_b128 v[16:19], v11 offset:46080
	v_mov_b32_e32 v28, s7
	s_waitcnt lgkmcnt(0)
	v_add_f64 v[8:9], v[0:1], -v[16:17]
	v_add_f64 v[20:21], v[2:3], v[18:19]
	v_add_f64 v[2:3], v[2:3], -v[18:19]
	v_add_f64 v[0:1], v[0:1], v[16:17]
	v_lshlrev_b64 v[16:17], 4, v[46:47]
	v_add_u32_e32 v46, 0x3f0, v44
	v_mul_f64 v[18:19], v[8:9], 0.5
	v_mul_f64 v[20:21], v[20:21], 0.5
	;; [unrolled: 1-line block ×3, first 2 shown]
	s_waitcnt vmcnt(1)
	v_mul_f64 v[8:9], v[18:19], v[6:7]
	v_fma_f64 v[22:23], v[20:21], v[6:7], v[2:3]
	v_fma_f64 v[6:7], v[20:21], v[6:7], -v[2:3]
	v_fma_f64 v[24:25], v[0:1], 0.5, v[8:9]
	v_fma_f64 v[26:27], v[0:1], 0.5, -v[8:9]
	v_add_co_u32_e32 v0, vcc, s6, v16
	v_addc_co_u32_e32 v1, vcc, v28, v17, vcc
	global_load_dwordx4 v[0:3], v[0:1], off
	v_fma_f64 v[8:9], -v[4:5], v[18:19], v[22:23]
	v_fma_f64 v[18:19], -v[4:5], v[18:19], v[6:7]
	v_fma_f64 v[6:7], v[20:21], v[4:5], v[24:25]
	v_fma_f64 v[16:17], -v[20:21], v[4:5], v[26:27]
	ds_write_b128 v59, v[6:9]
	ds_write_b128 v11, v[16:19] offset:46080
	ds_read_b128 v[4:7], v10
	ds_read_b128 v[16:19], v11 offset:43776
	s_waitcnt lgkmcnt(0)
	v_add_f64 v[8:9], v[4:5], -v[16:17]
	v_add_f64 v[20:21], v[6:7], v[18:19]
	v_add_f64 v[6:7], v[6:7], -v[18:19]
	v_add_f64 v[4:5], v[4:5], v[16:17]
	v_mul_f64 v[8:9], v[8:9], 0.5
	v_mul_f64 v[18:19], v[20:21], 0.5
	;; [unrolled: 1-line block ×3, first 2 shown]
	v_lshlrev_b64 v[20:21], 4, v[46:47]
	v_add_u32_e32 v46, 0x480, v44
	s_waitcnt vmcnt(1)
	v_mul_f64 v[16:17], v[8:9], v[14:15]
	v_fma_f64 v[22:23], v[18:19], v[14:15], v[6:7]
	v_fma_f64 v[14:15], v[18:19], v[14:15], -v[6:7]
	v_fma_f64 v[24:25], v[4:5], 0.5, v[16:17]
	v_fma_f64 v[26:27], v[4:5], 0.5, -v[16:17]
	v_add_co_u32_e32 v4, vcc, s6, v20
	v_addc_co_u32_e32 v5, vcc, v28, v21, vcc
	global_load_dwordx4 v[4:7], v[4:5], off
	v_fma_f64 v[16:17], -v[12:13], v[8:9], v[22:23]
	v_fma_f64 v[20:21], -v[12:13], v[8:9], v[14:15]
	v_fma_f64 v[14:15], v[18:19], v[12:13], v[24:25]
	v_fma_f64 v[18:19], -v[18:19], v[12:13], v[26:27]
	ds_write_b128 v10, v[14:17]
	ds_write_b128 v11, v[18:21] offset:43776
	ds_read_b128 v[12:15], v55 offset:13824
	ds_read_b128 v[16:19], v11 offset:41472
	v_mov_b32_e32 v10, s7
	s_waitcnt lgkmcnt(0)
	v_add_f64 v[8:9], v[12:13], -v[16:17]
	v_add_f64 v[20:21], v[14:15], v[18:19]
	v_add_f64 v[14:15], v[14:15], -v[18:19]
	v_add_f64 v[12:13], v[12:13], v[16:17]
	v_lshlrev_b64 v[18:19], 4, v[46:47]
	v_add_u32_e32 v46, 0x510, v44
	v_mul_f64 v[8:9], v[8:9], 0.5
	v_mul_f64 v[20:21], v[20:21], 0.5
	;; [unrolled: 1-line block ×3, first 2 shown]
	s_waitcnt vmcnt(1)
	v_mul_f64 v[16:17], v[8:9], v[2:3]
	v_fma_f64 v[22:23], v[20:21], v[2:3], v[14:15]
	v_fma_f64 v[2:3], v[20:21], v[2:3], -v[14:15]
	v_fma_f64 v[24:25], v[12:13], 0.5, v[16:17]
	v_fma_f64 v[26:27], v[12:13], 0.5, -v[16:17]
	v_add_co_u32_e32 v12, vcc, s6, v18
	v_addc_co_u32_e32 v13, vcc, v10, v19, vcc
	global_load_dwordx4 v[12:15], v[12:13], off
	v_fma_f64 v[18:19], -v[0:1], v[8:9], v[22:23]
	v_fma_f64 v[16:17], v[20:21], v[0:1], v[24:25]
	v_fma_f64 v[2:3], -v[0:1], v[8:9], v[2:3]
	v_fma_f64 v[0:1], -v[20:21], v[0:1], v[26:27]
	ds_write_b128 v55, v[16:19] offset:13824
	ds_write_b128 v11, v[0:3] offset:41472
	ds_read_b128 v[0:3], v55 offset:16128
	ds_read_b128 v[16:19], v11 offset:39168
	s_waitcnt lgkmcnt(0)
	v_add_f64 v[8:9], v[0:1], -v[16:17]
	v_add_f64 v[20:21], v[2:3], v[18:19]
	v_add_f64 v[2:3], v[2:3], -v[18:19]
	v_add_f64 v[0:1], v[0:1], v[16:17]
	v_lshlrev_b64 v[16:17], 4, v[46:47]
	v_add_u32_e32 v46, 0x5a0, v44
	v_mul_f64 v[18:19], v[8:9], 0.5
	v_mul_f64 v[20:21], v[20:21], 0.5
	;; [unrolled: 1-line block ×3, first 2 shown]
	s_waitcnt vmcnt(1)
	v_mul_f64 v[8:9], v[18:19], v[6:7]
	v_fma_f64 v[22:23], v[20:21], v[6:7], v[2:3]
	v_fma_f64 v[6:7], v[20:21], v[6:7], -v[2:3]
	v_fma_f64 v[24:25], v[0:1], 0.5, v[8:9]
	v_fma_f64 v[26:27], v[0:1], 0.5, -v[8:9]
	v_add_co_u32_e32 v0, vcc, s6, v16
	v_addc_co_u32_e32 v1, vcc, v10, v17, vcc
	global_load_dwordx4 v[0:3], v[0:1], off
	v_fma_f64 v[8:9], -v[4:5], v[18:19], v[22:23]
	v_fma_f64 v[18:19], -v[4:5], v[18:19], v[6:7]
	v_fma_f64 v[6:7], v[20:21], v[4:5], v[24:25]
	v_fma_f64 v[16:17], -v[20:21], v[4:5], v[26:27]
	ds_write_b128 v55, v[6:9] offset:16128
	ds_write_b128 v11, v[16:19] offset:39168
	ds_read_b128 v[4:7], v55 offset:18432
	ds_read_b128 v[16:19], v11 offset:36864
	s_waitcnt lgkmcnt(0)
	v_add_f64 v[8:9], v[4:5], -v[16:17]
	v_add_f64 v[20:21], v[6:7], v[18:19]
	v_add_f64 v[6:7], v[6:7], -v[18:19]
	v_add_f64 v[4:5], v[4:5], v[16:17]
	v_mul_f64 v[8:9], v[8:9], 0.5
	v_mul_f64 v[18:19], v[20:21], 0.5
	;; [unrolled: 1-line block ×3, first 2 shown]
	v_lshlrev_b64 v[20:21], 4, v[46:47]
	v_add_u32_e32 v46, 0x630, v44
	s_waitcnt vmcnt(1)
	v_mul_f64 v[16:17], v[8:9], v[14:15]
	v_fma_f64 v[22:23], v[18:19], v[14:15], v[6:7]
	v_fma_f64 v[14:15], v[18:19], v[14:15], -v[6:7]
	v_fma_f64 v[24:25], v[4:5], 0.5, v[16:17]
	v_fma_f64 v[26:27], v[4:5], 0.5, -v[16:17]
	v_add_co_u32_e32 v4, vcc, s6, v20
	v_addc_co_u32_e32 v5, vcc, v10, v21, vcc
	global_load_dwordx4 v[4:7], v[4:5], off
	v_fma_f64 v[16:17], -v[12:13], v[8:9], v[22:23]
	v_fma_f64 v[20:21], -v[12:13], v[8:9], v[14:15]
	v_fma_f64 v[14:15], v[18:19], v[12:13], v[24:25]
	v_fma_f64 v[18:19], -v[18:19], v[12:13], v[26:27]
	ds_write_b128 v55, v[14:17] offset:18432
	ds_write_b128 v11, v[18:21] offset:36864
	ds_read_b128 v[12:15], v55 offset:20736
	ds_read_b128 v[16:19], v11 offset:34560
	s_waitcnt lgkmcnt(0)
	v_add_f64 v[8:9], v[12:13], -v[16:17]
	v_add_f64 v[20:21], v[14:15], v[18:19]
	v_add_f64 v[14:15], v[14:15], -v[18:19]
	v_add_f64 v[12:13], v[12:13], v[16:17]
	v_lshlrev_b64 v[18:19], 4, v[46:47]
	v_mul_f64 v[8:9], v[8:9], 0.5
	v_mul_f64 v[20:21], v[20:21], 0.5
	;; [unrolled: 1-line block ×3, first 2 shown]
	s_waitcnt vmcnt(1)
	v_mul_f64 v[16:17], v[8:9], v[2:3]
	v_fma_f64 v[22:23], v[20:21], v[2:3], v[14:15]
	v_fma_f64 v[2:3], v[20:21], v[2:3], -v[14:15]
	v_fma_f64 v[24:25], v[12:13], 0.5, v[16:17]
	v_fma_f64 v[26:27], v[12:13], 0.5, -v[16:17]
	v_add_co_u32_e32 v12, vcc, s6, v18
	v_addc_co_u32_e32 v13, vcc, v10, v19, vcc
	global_load_dwordx4 v[12:15], v[12:13], off
	v_fma_f64 v[18:19], -v[0:1], v[8:9], v[22:23]
	v_fma_f64 v[16:17], v[20:21], v[0:1], v[24:25]
	v_fma_f64 v[2:3], -v[0:1], v[8:9], v[2:3]
	v_fma_f64 v[0:1], -v[20:21], v[0:1], v[26:27]
	ds_write_b128 v55, v[16:19] offset:20736
	ds_write_b128 v11, v[0:3] offset:34560
	ds_read_b128 v[0:3], v55 offset:23040
	ds_read_b128 v[16:19], v11 offset:32256
	s_waitcnt lgkmcnt(0)
	v_add_f64 v[8:9], v[0:1], -v[16:17]
	v_add_f64 v[20:21], v[2:3], v[18:19]
	v_add_f64 v[2:3], v[2:3], -v[18:19]
	v_add_f64 v[0:1], v[0:1], v[16:17]
	v_mul_f64 v[8:9], v[8:9], 0.5
	v_mul_f64 v[18:19], v[20:21], 0.5
	;; [unrolled: 1-line block ×3, first 2 shown]
	s_waitcnt vmcnt(1)
	v_mul_f64 v[16:17], v[8:9], v[6:7]
	v_fma_f64 v[20:21], v[18:19], v[6:7], v[2:3]
	v_fma_f64 v[6:7], v[18:19], v[6:7], -v[2:3]
	v_fma_f64 v[22:23], v[0:1], 0.5, v[16:17]
	v_fma_f64 v[16:17], v[0:1], 0.5, -v[16:17]
	v_fma_f64 v[2:3], -v[4:5], v[8:9], v[20:21]
	v_fma_f64 v[6:7], -v[4:5], v[8:9], v[6:7]
	v_fma_f64 v[0:1], v[18:19], v[4:5], v[22:23]
	v_fma_f64 v[4:5], -v[18:19], v[4:5], v[16:17]
	ds_write_b128 v55, v[0:3] offset:23040
	ds_write_b128 v11, v[4:7] offset:32256
	ds_read_b128 v[0:3], v55 offset:25344
	ds_read_b128 v[4:7], v11 offset:29952
	s_waitcnt lgkmcnt(0)
	v_add_f64 v[8:9], v[0:1], -v[4:5]
	v_add_f64 v[16:17], v[2:3], v[6:7]
	v_add_f64 v[2:3], v[2:3], -v[6:7]
	v_add_f64 v[0:1], v[0:1], v[4:5]
	v_mul_f64 v[6:7], v[8:9], 0.5
	v_mul_f64 v[8:9], v[16:17], 0.5
	v_mul_f64 v[2:3], v[2:3], 0.5
	s_waitcnt vmcnt(0)
	v_mul_f64 v[4:5], v[6:7], v[14:15]
	v_fma_f64 v[16:17], v[8:9], v[14:15], v[2:3]
	v_fma_f64 v[14:15], v[8:9], v[14:15], -v[2:3]
	v_fma_f64 v[18:19], v[0:1], 0.5, v[4:5]
	v_fma_f64 v[4:5], v[0:1], 0.5, -v[4:5]
	v_fma_f64 v[2:3], -v[12:13], v[6:7], v[16:17]
	v_fma_f64 v[6:7], -v[12:13], v[6:7], v[14:15]
	v_fma_f64 v[0:1], v[8:9], v[12:13], v[18:19]
	v_fma_f64 v[4:5], -v[8:9], v[12:13], v[4:5]
	ds_write_b128 v55, v[0:3] offset:25344
	ds_write_b128 v11, v[4:7] offset:29952
	s_waitcnt lgkmcnt(0)
	s_barrier
	s_and_saveexec_b64 s[4:5], s[0:1]
	s_cbranch_execz .LBB0_20
; %bb.18:
	v_mov_b32_e32 v45, v47
	ds_read_b128 v[2:5], v55
	v_mov_b32_e32 v0, s3
	v_add_co_u32_e32 v1, vcc, s2, v48
	v_lshlrev_b64 v[10:11], 4, v[44:45]
	v_addc_co_u32_e32 v0, vcc, v0, v49, vcc
	ds_read_b128 v[6:9], v55 offset:2304
	v_add_co_u32_e32 v14, vcc, v1, v10
	v_addc_co_u32_e32 v15, vcc, v0, v11, vcc
	ds_read_b128 v[10:13], v55 offset:52992
	s_waitcnt lgkmcnt(2)
	global_store_dwordx4 v[14:15], v[2:5], off
	ds_read_b128 v[2:5], v55 offset:4608
	s_waitcnt lgkmcnt(2)
	global_store_dwordx4 v[14:15], v[6:9], off offset:2304
	v_add_co_u32_e32 v16, vcc, 0x1000, v14
	ds_read_b128 v[6:9], v55 offset:6912
	v_addc_co_u32_e32 v17, vcc, 0, v15, vcc
	s_waitcnt lgkmcnt(1)
	global_store_dwordx4 v[16:17], v[2:5], off offset:512
	ds_read_b128 v[2:5], v55 offset:9216
	s_waitcnt lgkmcnt(1)
	global_store_dwordx4 v[16:17], v[6:9], off offset:2816
	v_add_co_u32_e32 v16, vcc, 0x2000, v14
	ds_read_b128 v[6:9], v55 offset:11520
	v_addc_co_u32_e32 v17, vcc, 0, v15, vcc
	s_waitcnt lgkmcnt(1)
	global_store_dwordx4 v[16:17], v[2:5], off offset:1024
	;; [unrolled: 8-line block ×3, first 2 shown]
	ds_read_b128 v[2:5], v55 offset:18432
	s_waitcnt lgkmcnt(1)
	global_store_dwordx4 v[16:17], v[6:9], off offset:3840
	v_or_b32_e32 v46, 0x900, v44
	v_add_co_u32_e32 v6, vcc, 0x4000, v14
	v_addc_co_u32_e32 v7, vcc, 0, v15, vcc
	s_waitcnt lgkmcnt(0)
	global_store_dwordx4 v[6:7], v[2:5], off offset:2048
	ds_read_b128 v[2:5], v55 offset:20736
	ds_read_b128 v[6:9], v55 offset:23040
	v_add_co_u32_e32 v16, vcc, 0x5000, v14
	v_addc_co_u32_e32 v17, vcc, 0, v15, vcc
	s_waitcnt lgkmcnt(1)
	global_store_dwordx4 v[16:17], v[2:5], off offset:256
	s_waitcnt lgkmcnt(0)
	global_store_dwordx4 v[16:17], v[6:9], off offset:2560
	ds_read_b128 v[2:5], v55 offset:25344
	ds_read_b128 v[6:9], v55 offset:27648
	v_add_co_u32_e32 v16, vcc, 0x6000, v14
	v_addc_co_u32_e32 v17, vcc, 0, v15, vcc
	s_waitcnt lgkmcnt(1)
	global_store_dwordx4 v[16:17], v[2:5], off offset:768
	;; [unrolled: 8-line block ×4, first 2 shown]
	s_movk_i32 s0, 0x8f
	v_lshlrev_b64 v[2:3], 4, v[46:47]
	v_add_co_u32_e32 v2, vcc, v1, v2
	v_addc_co_u32_e32 v3, vcc, v0, v3, vcc
	s_waitcnt lgkmcnt(0)
	global_store_dwordx4 v[2:3], v[6:9], off
	ds_read_b128 v[2:5], v55 offset:39168
	ds_read_b128 v[6:9], v55 offset:41472
	v_add_co_u32_e32 v16, vcc, 0x9000, v14
	v_addc_co_u32_e32 v17, vcc, 0, v15, vcc
	s_waitcnt lgkmcnt(1)
	global_store_dwordx4 v[16:17], v[2:5], off offset:2304
	ds_read_b128 v[2:5], v55 offset:43776
	v_add_co_u32_e32 v16, vcc, 0xa000, v14
	v_addc_co_u32_e32 v17, vcc, 0, v15, vcc
	s_waitcnt lgkmcnt(1)
	global_store_dwordx4 v[16:17], v[6:9], off offset:512
	ds_read_b128 v[6:9], v55 offset:46080
	s_waitcnt lgkmcnt(1)
	global_store_dwordx4 v[16:17], v[2:5], off offset:2816
	ds_read_b128 v[2:5], v55 offset:48384
	v_add_co_u32_e32 v16, vcc, 0xb000, v14
	v_addc_co_u32_e32 v17, vcc, 0, v15, vcc
	s_waitcnt lgkmcnt(1)
	global_store_dwordx4 v[16:17], v[6:9], off offset:1024
	ds_read_b128 v[6:9], v55 offset:50688
	s_waitcnt lgkmcnt(1)
	global_store_dwordx4 v[16:17], v[2:5], off offset:3328
	s_nop 0
	v_add_co_u32_e32 v2, vcc, 0xc000, v14
	v_addc_co_u32_e32 v3, vcc, 0, v15, vcc
	v_cmp_eq_u32_e32 vcc, s0, v44
	s_waitcnt lgkmcnt(0)
	global_store_dwordx4 v[2:3], v[6:9], off offset:1536
	global_store_dwordx4 v[2:3], v[10:13], off offset:3840
	s_and_b64 exec, exec, vcc
	s_cbranch_execz .LBB0_20
; %bb.19:
	v_mov_b32_e32 v2, 0
	ds_read_b128 v[2:5], v2 offset:55296
	v_add_co_u32_e32 v6, vcc, 0xd000, v1
	v_addc_co_u32_e32 v7, vcc, 0, v0, vcc
	s_waitcnt lgkmcnt(0)
	global_store_dwordx4 v[6:7], v[2:5], off offset:2048
.LBB0_20:
	s_endpgm
	.section	.rodata,"a",@progbits
	.p2align	6, 0x0
	.amdhsa_kernel fft_rtc_back_len3456_factors_6_6_6_4_4_wgs_144_tpt_144_halfLds_dp_ip_CI_unitstride_sbrr_R2C_dirReg
		.amdhsa_group_segment_fixed_size 0
		.amdhsa_private_segment_fixed_size 0
		.amdhsa_kernarg_size 88
		.amdhsa_user_sgpr_count 6
		.amdhsa_user_sgpr_private_segment_buffer 1
		.amdhsa_user_sgpr_dispatch_ptr 0
		.amdhsa_user_sgpr_queue_ptr 0
		.amdhsa_user_sgpr_kernarg_segment_ptr 1
		.amdhsa_user_sgpr_dispatch_id 0
		.amdhsa_user_sgpr_flat_scratch_init 0
		.amdhsa_user_sgpr_private_segment_size 0
		.amdhsa_uses_dynamic_stack 0
		.amdhsa_system_sgpr_private_segment_wavefront_offset 0
		.amdhsa_system_sgpr_workgroup_id_x 1
		.amdhsa_system_sgpr_workgroup_id_y 0
		.amdhsa_system_sgpr_workgroup_id_z 0
		.amdhsa_system_sgpr_workgroup_info 0
		.amdhsa_system_vgpr_workitem_id 0
		.amdhsa_next_free_vgpr 142
		.amdhsa_next_free_sgpr 22
		.amdhsa_reserve_vcc 1
		.amdhsa_reserve_flat_scratch 0
		.amdhsa_float_round_mode_32 0
		.amdhsa_float_round_mode_16_64 0
		.amdhsa_float_denorm_mode_32 3
		.amdhsa_float_denorm_mode_16_64 3
		.amdhsa_dx10_clamp 1
		.amdhsa_ieee_mode 1
		.amdhsa_fp16_overflow 0
		.amdhsa_exception_fp_ieee_invalid_op 0
		.amdhsa_exception_fp_denorm_src 0
		.amdhsa_exception_fp_ieee_div_zero 0
		.amdhsa_exception_fp_ieee_overflow 0
		.amdhsa_exception_fp_ieee_underflow 0
		.amdhsa_exception_fp_ieee_inexact 0
		.amdhsa_exception_int_div_zero 0
	.end_amdhsa_kernel
	.text
.Lfunc_end0:
	.size	fft_rtc_back_len3456_factors_6_6_6_4_4_wgs_144_tpt_144_halfLds_dp_ip_CI_unitstride_sbrr_R2C_dirReg, .Lfunc_end0-fft_rtc_back_len3456_factors_6_6_6_4_4_wgs_144_tpt_144_halfLds_dp_ip_CI_unitstride_sbrr_R2C_dirReg
                                        ; -- End function
	.section	.AMDGPU.csdata,"",@progbits
; Kernel info:
; codeLenInByte = 17848
; NumSgprs: 26
; NumVgprs: 142
; ScratchSize: 0
; MemoryBound: 0
; FloatMode: 240
; IeeeMode: 1
; LDSByteSize: 0 bytes/workgroup (compile time only)
; SGPRBlocks: 3
; VGPRBlocks: 35
; NumSGPRsForWavesPerEU: 26
; NumVGPRsForWavesPerEU: 142
; Occupancy: 1
; WaveLimiterHint : 1
; COMPUTE_PGM_RSRC2:SCRATCH_EN: 0
; COMPUTE_PGM_RSRC2:USER_SGPR: 6
; COMPUTE_PGM_RSRC2:TRAP_HANDLER: 0
; COMPUTE_PGM_RSRC2:TGID_X_EN: 1
; COMPUTE_PGM_RSRC2:TGID_Y_EN: 0
; COMPUTE_PGM_RSRC2:TGID_Z_EN: 0
; COMPUTE_PGM_RSRC2:TIDIG_COMP_CNT: 0
	.type	__hip_cuid_558033a5eb84f5fd,@object ; @__hip_cuid_558033a5eb84f5fd
	.section	.bss,"aw",@nobits
	.globl	__hip_cuid_558033a5eb84f5fd
__hip_cuid_558033a5eb84f5fd:
	.byte	0                               ; 0x0
	.size	__hip_cuid_558033a5eb84f5fd, 1

	.ident	"AMD clang version 19.0.0git (https://github.com/RadeonOpenCompute/llvm-project roc-6.4.0 25133 c7fe45cf4b819c5991fe208aaa96edf142730f1d)"
	.section	".note.GNU-stack","",@progbits
	.addrsig
	.addrsig_sym __hip_cuid_558033a5eb84f5fd
	.amdgpu_metadata
---
amdhsa.kernels:
  - .args:
      - .actual_access:  read_only
        .address_space:  global
        .offset:         0
        .size:           8
        .value_kind:     global_buffer
      - .offset:         8
        .size:           8
        .value_kind:     by_value
      - .actual_access:  read_only
        .address_space:  global
        .offset:         16
        .size:           8
        .value_kind:     global_buffer
      - .actual_access:  read_only
        .address_space:  global
        .offset:         24
        .size:           8
        .value_kind:     global_buffer
      - .offset:         32
        .size:           8
        .value_kind:     by_value
      - .actual_access:  read_only
        .address_space:  global
        .offset:         40
        .size:           8
        .value_kind:     global_buffer
      - .actual_access:  read_only
        .address_space:  global
        .offset:         48
        .size:           8
        .value_kind:     global_buffer
      - .offset:         56
        .size:           4
        .value_kind:     by_value
      - .actual_access:  read_only
        .address_space:  global
        .offset:         64
        .size:           8
        .value_kind:     global_buffer
      - .actual_access:  read_only
        .address_space:  global
        .offset:         72
        .size:           8
        .value_kind:     global_buffer
      - .address_space:  global
        .offset:         80
        .size:           8
        .value_kind:     global_buffer
    .group_segment_fixed_size: 0
    .kernarg_segment_align: 8
    .kernarg_segment_size: 88
    .language:       OpenCL C
    .language_version:
      - 2
      - 0
    .max_flat_workgroup_size: 144
    .name:           fft_rtc_back_len3456_factors_6_6_6_4_4_wgs_144_tpt_144_halfLds_dp_ip_CI_unitstride_sbrr_R2C_dirReg
    .private_segment_fixed_size: 0
    .sgpr_count:     26
    .sgpr_spill_count: 0
    .symbol:         fft_rtc_back_len3456_factors_6_6_6_4_4_wgs_144_tpt_144_halfLds_dp_ip_CI_unitstride_sbrr_R2C_dirReg.kd
    .uniform_work_group_size: 1
    .uses_dynamic_stack: false
    .vgpr_count:     142
    .vgpr_spill_count: 0
    .wavefront_size: 64
amdhsa.target:   amdgcn-amd-amdhsa--gfx906
amdhsa.version:
  - 1
  - 2
...

	.end_amdgpu_metadata
